;; amdgpu-corpus repo=ROCm/rocFFT kind=compiled arch=gfx906 opt=O3
	.text
	.amdgcn_target "amdgcn-amd-amdhsa--gfx906"
	.amdhsa_code_object_version 6
	.protected	fft_rtc_back_len1785_factors_17_3_5_7_wgs_119_tpt_119_halfLds_sp_op_CI_CI_sbrr_dirReg ; -- Begin function fft_rtc_back_len1785_factors_17_3_5_7_wgs_119_tpt_119_halfLds_sp_op_CI_CI_sbrr_dirReg
	.globl	fft_rtc_back_len1785_factors_17_3_5_7_wgs_119_tpt_119_halfLds_sp_op_CI_CI_sbrr_dirReg
	.p2align	8
	.type	fft_rtc_back_len1785_factors_17_3_5_7_wgs_119_tpt_119_halfLds_sp_op_CI_CI_sbrr_dirReg,@function
fft_rtc_back_len1785_factors_17_3_5_7_wgs_119_tpt_119_halfLds_sp_op_CI_CI_sbrr_dirReg: ; @fft_rtc_back_len1785_factors_17_3_5_7_wgs_119_tpt_119_halfLds_sp_op_CI_CI_sbrr_dirReg
; %bb.0:
	s_load_dwordx4 s[16:19], s[4:5], 0x18
	s_load_dwordx4 s[8:11], s[4:5], 0x0
	;; [unrolled: 1-line block ×3, first 2 shown]
	v_mul_u32_u24_e32 v1, 0x227, v0
	v_mov_b32_e32 v5, 0
	s_waitcnt lgkmcnt(0)
	s_load_dwordx2 s[22:23], s[16:17], 0x0
	s_load_dwordx2 s[20:21], s[18:19], 0x0
	v_cmp_lt_u64_e64 s[0:1], s[10:11], 2
	v_mov_b32_e32 v3, 0
	v_add_u32_sdwa v9, s6, v1 dst_sel:DWORD dst_unused:UNUSED_PAD src0_sel:DWORD src1_sel:WORD_1
	v_mov_b32_e32 v10, v5
	s_and_b64 vcc, exec, s[0:1]
	v_mov_b32_e32 v4, 0
	s_cbranch_vccnz .LBB0_8
; %bb.1:
	s_load_dwordx2 s[0:1], s[4:5], 0x10
	s_add_u32 s2, s18, 8
	s_addc_u32 s3, s19, 0
	s_add_u32 s6, s16, 8
	s_addc_u32 s7, s17, 0
	v_mov_b32_e32 v3, 0
	s_waitcnt lgkmcnt(0)
	s_add_u32 s24, s0, 8
	v_mov_b32_e32 v4, 0
	v_mov_b32_e32 v1, v3
	s_addc_u32 s25, s1, 0
	s_mov_b64 s[26:27], 1
	v_mov_b32_e32 v2, v4
.LBB0_2:                                ; =>This Inner Loop Header: Depth=1
	s_load_dwordx2 s[28:29], s[24:25], 0x0
                                        ; implicit-def: $vgpr7_vgpr8
	s_waitcnt lgkmcnt(0)
	v_or_b32_e32 v6, s29, v10
	v_cmp_ne_u64_e32 vcc, 0, v[5:6]
	s_and_saveexec_b64 s[0:1], vcc
	s_xor_b64 s[30:31], exec, s[0:1]
	s_cbranch_execz .LBB0_4
; %bb.3:                                ;   in Loop: Header=BB0_2 Depth=1
	v_cvt_f32_u32_e32 v6, s28
	v_cvt_f32_u32_e32 v7, s29
	s_sub_u32 s0, 0, s28
	s_subb_u32 s1, 0, s29
	v_mac_f32_e32 v6, 0x4f800000, v7
	v_rcp_f32_e32 v6, v6
	v_mul_f32_e32 v6, 0x5f7ffffc, v6
	v_mul_f32_e32 v7, 0x2f800000, v6
	v_trunc_f32_e32 v7, v7
	v_mac_f32_e32 v6, 0xcf800000, v7
	v_cvt_u32_f32_e32 v7, v7
	v_cvt_u32_f32_e32 v6, v6
	v_mul_lo_u32 v8, s0, v7
	v_mul_hi_u32 v11, s0, v6
	v_mul_lo_u32 v13, s1, v6
	v_mul_lo_u32 v12, s0, v6
	v_add_u32_e32 v8, v11, v8
	v_add_u32_e32 v8, v8, v13
	v_mul_hi_u32 v11, v6, v12
	v_mul_lo_u32 v13, v6, v8
	v_mul_hi_u32 v15, v6, v8
	v_mul_hi_u32 v14, v7, v12
	v_mul_lo_u32 v12, v7, v12
	v_mul_hi_u32 v16, v7, v8
	v_add_co_u32_e32 v11, vcc, v11, v13
	v_addc_co_u32_e32 v13, vcc, 0, v15, vcc
	v_mul_lo_u32 v8, v7, v8
	v_add_co_u32_e32 v11, vcc, v11, v12
	v_addc_co_u32_e32 v11, vcc, v13, v14, vcc
	v_addc_co_u32_e32 v12, vcc, 0, v16, vcc
	v_add_co_u32_e32 v8, vcc, v11, v8
	v_addc_co_u32_e32 v11, vcc, 0, v12, vcc
	v_add_co_u32_e32 v6, vcc, v6, v8
	v_addc_co_u32_e32 v7, vcc, v7, v11, vcc
	v_mul_lo_u32 v8, s0, v7
	v_mul_hi_u32 v11, s0, v6
	v_mul_lo_u32 v12, s1, v6
	v_mul_lo_u32 v13, s0, v6
	v_add_u32_e32 v8, v11, v8
	v_add_u32_e32 v8, v8, v12
	v_mul_lo_u32 v14, v6, v8
	v_mul_hi_u32 v15, v6, v13
	v_mul_hi_u32 v16, v6, v8
	;; [unrolled: 1-line block ×3, first 2 shown]
	v_mul_lo_u32 v13, v7, v13
	v_mul_hi_u32 v11, v7, v8
	v_add_co_u32_e32 v14, vcc, v15, v14
	v_addc_co_u32_e32 v15, vcc, 0, v16, vcc
	v_mul_lo_u32 v8, v7, v8
	v_add_co_u32_e32 v13, vcc, v14, v13
	v_addc_co_u32_e32 v12, vcc, v15, v12, vcc
	v_addc_co_u32_e32 v11, vcc, 0, v11, vcc
	v_add_co_u32_e32 v8, vcc, v12, v8
	v_addc_co_u32_e32 v11, vcc, 0, v11, vcc
	v_add_co_u32_e32 v8, vcc, v6, v8
	v_addc_co_u32_e32 v11, vcc, v7, v11, vcc
	v_mad_u64_u32 v[6:7], s[0:1], v9, v11, 0
	v_mul_hi_u32 v12, v9, v8
	v_add_co_u32_e32 v13, vcc, v12, v6
	v_addc_co_u32_e32 v14, vcc, 0, v7, vcc
	v_mad_u64_u32 v[6:7], s[0:1], v10, v8, 0
	v_mad_u64_u32 v[11:12], s[0:1], v10, v11, 0
	v_add_co_u32_e32 v6, vcc, v13, v6
	v_addc_co_u32_e32 v6, vcc, v14, v7, vcc
	v_addc_co_u32_e32 v7, vcc, 0, v12, vcc
	v_add_co_u32_e32 v11, vcc, v6, v11
	v_addc_co_u32_e32 v8, vcc, 0, v7, vcc
	v_mul_lo_u32 v12, s29, v11
	v_mul_lo_u32 v13, s28, v8
	v_mad_u64_u32 v[6:7], s[0:1], s28, v11, 0
	v_add3_u32 v7, v7, v13, v12
	v_sub_u32_e32 v12, v10, v7
	v_mov_b32_e32 v13, s29
	v_sub_co_u32_e32 v6, vcc, v9, v6
	v_subb_co_u32_e64 v12, s[0:1], v12, v13, vcc
	v_subrev_co_u32_e64 v13, s[0:1], s28, v6
	v_subbrev_co_u32_e64 v12, s[0:1], 0, v12, s[0:1]
	v_cmp_le_u32_e64 s[0:1], s29, v12
	v_cndmask_b32_e64 v14, 0, -1, s[0:1]
	v_cmp_le_u32_e64 s[0:1], s28, v13
	v_cndmask_b32_e64 v13, 0, -1, s[0:1]
	v_cmp_eq_u32_e64 s[0:1], s29, v12
	v_cndmask_b32_e64 v12, v14, v13, s[0:1]
	v_add_co_u32_e64 v13, s[0:1], 2, v11
	v_addc_co_u32_e64 v14, s[0:1], 0, v8, s[0:1]
	v_add_co_u32_e64 v15, s[0:1], 1, v11
	v_addc_co_u32_e64 v16, s[0:1], 0, v8, s[0:1]
	v_subb_co_u32_e32 v7, vcc, v10, v7, vcc
	v_cmp_ne_u32_e64 s[0:1], 0, v12
	v_cmp_le_u32_e32 vcc, s29, v7
	v_cndmask_b32_e64 v12, v16, v14, s[0:1]
	v_cndmask_b32_e64 v14, 0, -1, vcc
	v_cmp_le_u32_e32 vcc, s28, v6
	v_cndmask_b32_e64 v6, 0, -1, vcc
	v_cmp_eq_u32_e32 vcc, s29, v7
	v_cndmask_b32_e32 v6, v14, v6, vcc
	v_cmp_ne_u32_e32 vcc, 0, v6
	v_cndmask_b32_e64 v6, v15, v13, s[0:1]
	v_cndmask_b32_e32 v8, v8, v12, vcc
	v_cndmask_b32_e32 v7, v11, v6, vcc
.LBB0_4:                                ;   in Loop: Header=BB0_2 Depth=1
	s_andn2_saveexec_b64 s[0:1], s[30:31]
	s_cbranch_execz .LBB0_6
; %bb.5:                                ;   in Loop: Header=BB0_2 Depth=1
	v_cvt_f32_u32_e32 v6, s28
	s_sub_i32 s30, 0, s28
	v_rcp_iflag_f32_e32 v6, v6
	v_mul_f32_e32 v6, 0x4f7ffffe, v6
	v_cvt_u32_f32_e32 v6, v6
	v_mul_lo_u32 v7, s30, v6
	v_mul_hi_u32 v7, v6, v7
	v_add_u32_e32 v6, v6, v7
	v_mul_hi_u32 v6, v9, v6
	v_mul_lo_u32 v7, v6, s28
	v_add_u32_e32 v8, 1, v6
	v_sub_u32_e32 v7, v9, v7
	v_subrev_u32_e32 v11, s28, v7
	v_cmp_le_u32_e32 vcc, s28, v7
	v_cndmask_b32_e32 v7, v7, v11, vcc
	v_cndmask_b32_e32 v6, v6, v8, vcc
	v_add_u32_e32 v8, 1, v6
	v_cmp_le_u32_e32 vcc, s28, v7
	v_cndmask_b32_e32 v7, v6, v8, vcc
	v_mov_b32_e32 v8, v5
.LBB0_6:                                ;   in Loop: Header=BB0_2 Depth=1
	s_or_b64 exec, exec, s[0:1]
	v_mul_lo_u32 v6, v8, s28
	v_mul_lo_u32 v13, v7, s29
	v_mad_u64_u32 v[11:12], s[0:1], v7, s28, 0
	s_load_dwordx2 s[0:1], s[6:7], 0x0
	s_load_dwordx2 s[28:29], s[2:3], 0x0
	v_add3_u32 v6, v12, v13, v6
	v_sub_co_u32_e32 v9, vcc, v9, v11
	v_subb_co_u32_e32 v6, vcc, v10, v6, vcc
	s_waitcnt lgkmcnt(0)
	v_mul_lo_u32 v10, s0, v6
	v_mul_lo_u32 v11, s1, v9
	v_mad_u64_u32 v[3:4], s[0:1], s0, v9, v[3:4]
	s_add_u32 s26, s26, 1
	s_addc_u32 s27, s27, 0
	s_add_u32 s2, s2, 8
	v_mul_lo_u32 v6, s28, v6
	v_mul_lo_u32 v12, s29, v9
	v_mad_u64_u32 v[1:2], s[0:1], s28, v9, v[1:2]
	v_add3_u32 v4, v11, v4, v10
	s_addc_u32 s3, s3, 0
	v_mov_b32_e32 v9, s10
	s_add_u32 s6, s6, 8
	v_mov_b32_e32 v10, s11
	s_addc_u32 s7, s7, 0
	v_cmp_ge_u64_e32 vcc, s[26:27], v[9:10]
	s_add_u32 s24, s24, 8
	v_add3_u32 v2, v12, v2, v6
	s_addc_u32 s25, s25, 0
	s_cbranch_vccnz .LBB0_9
; %bb.7:                                ;   in Loop: Header=BB0_2 Depth=1
	v_mov_b32_e32 v10, v8
	v_mov_b32_e32 v9, v7
	s_branch .LBB0_2
.LBB0_8:
	v_mov_b32_e32 v1, v3
	v_mov_b32_e32 v7, v9
	;; [unrolled: 1-line block ×4, first 2 shown]
.LBB0_9:
	s_load_dwordx2 s[0:1], s[4:5], 0x28
	s_mov_b32 s4, 0x226b903
	v_mul_hi_u32 v5, v0, s4
	s_lshl_b64 s[2:3], s[10:11], 3
	s_add_u32 s4, s18, s2
	s_waitcnt lgkmcnt(0)
	v_cmp_gt_u64_e32 vcc, s[0:1], v[7:8]
	v_mul_u32_u24_e32 v5, 0x77, v5
	v_sub_u32_e32 v0, v0, v5
	s_movk_i32 s0, 0x69
	v_cmp_gt_u32_e64 s[0:1], s0, v0
	s_addc_u32 s5, s19, s3
	s_and_b64 s[10:11], vcc, s[0:1]
	v_mov_b32_e32 v12, 0
	v_mov_b32_e32 v11, 0
                                        ; implicit-def: $vgpr14
                                        ; implicit-def: $vgpr16
                                        ; implicit-def: $vgpr18
                                        ; implicit-def: $vgpr20
                                        ; implicit-def: $vgpr22
                                        ; implicit-def: $vgpr24
                                        ; implicit-def: $vgpr26
                                        ; implicit-def: $vgpr28
                                        ; implicit-def: $vgpr30
                                        ; implicit-def: $vgpr32
                                        ; implicit-def: $vgpr34
                                        ; implicit-def: $vgpr42
                                        ; implicit-def: $vgpr44
                                        ; implicit-def: $vgpr36
                                        ; implicit-def: $vgpr38
                                        ; implicit-def: $vgpr40
	s_and_saveexec_b64 s[6:7], s[10:11]
	s_cbranch_execz .LBB0_11
; %bb.10:
	s_add_u32 s2, s16, s2
	s_addc_u32 s3, s17, s3
	s_load_dwordx2 s[2:3], s[2:3], 0x0
	v_mad_u64_u32 v[5:6], s[10:11], s22, v0, 0
	v_lshlrev_b64 v[3:4], 3, v[3:4]
	v_add_u32_e32 v15, 0x13b, v0
	s_waitcnt lgkmcnt(0)
	v_mul_lo_u32 v13, s3, v7
	v_mul_lo_u32 v14, s2, v8
	v_mad_u64_u32 v[9:10], s[2:3], s2, v7, 0
	v_mad_u64_u32 v[11:12], s[2:3], s23, v0, v[6:7]
	v_add3_u32 v10, v10, v14, v13
	v_lshlrev_b64 v[9:10], 3, v[9:10]
	v_mov_b32_e32 v6, v11
	v_mov_b32_e32 v11, s13
	v_add_co_u32_e64 v12, s[2:3], s12, v9
	v_add_u32_e32 v13, 0x69, v0
	v_addc_co_u32_e64 v11, s[2:3], v11, v10, s[2:3]
	v_mad_u64_u32 v[9:10], s[2:3], s22, v13, 0
	v_add_co_u32_e64 v19, s[2:3], v12, v3
	v_addc_co_u32_e64 v20, s[2:3], v11, v4, s[2:3]
	v_lshlrev_b64 v[3:4], 3, v[5:6]
	v_mov_b32_e32 v5, v10
	v_mad_u64_u32 v[5:6], s[2:3], s23, v13, v[5:6]
	v_add_u32_e32 v13, 0xd2, v0
	v_mad_u64_u32 v[11:12], s[2:3], s22, v13, 0
	v_mov_b32_e32 v10, v5
	v_add_co_u32_e64 v3, s[2:3], v19, v3
	v_lshlrev_b64 v[5:6], 3, v[9:10]
	v_mov_b32_e32 v9, v12
	v_addc_co_u32_e64 v4, s[2:3], v20, v4, s[2:3]
	v_mad_u64_u32 v[9:10], s[2:3], s23, v13, v[9:10]
	v_mad_u64_u32 v[13:14], s[2:3], s22, v15, 0
	v_mov_b32_e32 v12, v9
	v_add_co_u32_e64 v5, s[2:3], v19, v5
	v_lshlrev_b64 v[9:10], 3, v[11:12]
	v_mov_b32_e32 v11, v14
	v_addc_co_u32_e64 v6, s[2:3], v20, v6, s[2:3]
	v_mad_u64_u32 v[11:12], s[2:3], s23, v15, v[11:12]
	v_add_u32_e32 v17, 0x1a4, v0
	v_mad_u64_u32 v[15:16], s[2:3], s22, v17, 0
	v_mov_b32_e32 v14, v11
	v_add_co_u32_e64 v9, s[2:3], v19, v9
	v_lshlrev_b64 v[11:12], 3, v[13:14]
	v_mov_b32_e32 v13, v16
	v_addc_co_u32_e64 v10, s[2:3], v20, v10, s[2:3]
	v_mad_u64_u32 v[13:14], s[2:3], s23, v17, v[13:14]
	v_add_u32_e32 v14, 0x20d, v0
	v_mad_u64_u32 v[17:18], s[2:3], s22, v14, 0
	v_add_co_u32_e64 v41, s[2:3], v19, v11
	v_mov_b32_e32 v16, v13
	v_mov_b32_e32 v13, v18
	v_addc_co_u32_e64 v42, s[2:3], v20, v12, s[2:3]
	v_lshlrev_b64 v[11:12], 3, v[15:16]
	v_mad_u64_u32 v[13:14], s[2:3], s23, v14, v[13:14]
	v_add_u32_e32 v16, 0x276, v0
	v_mad_u64_u32 v[14:15], s[2:3], s22, v16, 0
	v_add_co_u32_e64 v43, s[2:3], v19, v11
	v_mov_b32_e32 v18, v13
	v_mov_b32_e32 v13, v15
	v_addc_co_u32_e64 v44, s[2:3], v20, v12, s[2:3]
	v_lshlrev_b64 v[11:12], 3, v[17:18]
	v_mad_u64_u32 v[15:16], s[2:3], s23, v16, v[13:14]
	v_add_u32_e32 v18, 0x2df, v0
	v_mad_u64_u32 v[16:17], s[2:3], s22, v18, 0
	v_add_co_u32_e64 v45, s[2:3], v19, v11
	v_mov_b32_e32 v13, v17
	v_addc_co_u32_e64 v46, s[2:3], v20, v12, s[2:3]
	v_lshlrev_b64 v[11:12], 3, v[14:15]
	v_mad_u64_u32 v[13:14], s[2:3], s23, v18, v[13:14]
	v_add_u32_e32 v18, 0x348, v0
	v_mad_u64_u32 v[14:15], s[2:3], s22, v18, 0
	v_add_co_u32_e64 v47, s[2:3], v19, v11
	v_mov_b32_e32 v17, v13
	v_mov_b32_e32 v13, v15
	v_addc_co_u32_e64 v48, s[2:3], v20, v12, s[2:3]
	v_lshlrev_b64 v[11:12], 3, v[16:17]
	v_mad_u64_u32 v[15:16], s[2:3], s23, v18, v[13:14]
	v_add_u32_e32 v18, 0x3b1, v0
	v_mad_u64_u32 v[16:17], s[2:3], s22, v18, 0
	v_add_co_u32_e64 v49, s[2:3], v19, v11
	;; [unrolled: 15-line block ×5, first 2 shown]
	v_mov_b32_e32 v13, v17
	v_addc_co_u32_e64 v62, s[2:3], v20, v12, s[2:3]
	v_lshlrev_b64 v[11:12], 3, v[14:15]
	v_mad_u64_u32 v[13:14], s[2:3], s23, v18, v[13:14]
	v_add_u32_e32 v18, 0x690, v0
	v_mad_u64_u32 v[14:15], s[2:3], s22, v18, 0
	v_add_co_u32_e64 v63, s[2:3], v19, v11
	v_mov_b32_e32 v17, v13
	v_mov_b32_e32 v13, v15
	v_addc_co_u32_e64 v64, s[2:3], v20, v12, s[2:3]
	v_lshlrev_b64 v[11:12], 3, v[16:17]
	v_mad_u64_u32 v[15:16], s[2:3], s23, v18, v[13:14]
	v_add_co_u32_e64 v65, s[2:3], v19, v11
	v_addc_co_u32_e64 v66, s[2:3], v20, v12, s[2:3]
	v_lshlrev_b64 v[11:12], 3, v[14:15]
	v_add_co_u32_e64 v67, s[2:3], v19, v11
	v_addc_co_u32_e64 v68, s[2:3], v20, v12, s[2:3]
	global_load_dwordx2 v[11:12], v[3:4], off
	global_load_dwordx2 v[13:14], v[5:6], off
	;; [unrolled: 1-line block ×15, first 2 shown]
                                        ; kill: killed $vgpr57 killed $vgpr58
                                        ; kill: killed $vgpr47 killed $vgpr48
                                        ; kill: killed $vgpr5 killed $vgpr6
                                        ; kill: killed $vgpr61 killed $vgpr62
                                        ; kill: killed $vgpr51 killed $vgpr52
                                        ; kill: killed $vgpr41 killed $vgpr42
                                        ; kill: killed $vgpr55 killed $vgpr56
                                        ; kill: killed $vgpr45 killed $vgpr46
                                        ; kill: killed $vgpr3 killed $vgpr4
                                        ; kill: killed $vgpr59 killed $vgpr60
                                        ; kill: killed $vgpr49 killed $vgpr50
                                        ; kill: killed $vgpr9 killed $vgpr10
                                        ; kill: killed $vgpr63 killed $vgpr64
                                        ; kill: killed $vgpr53 killed $vgpr54
                                        ; kill: killed $vgpr43 killed $vgpr44
	global_load_dwordx2 v[41:42], v[65:66], off
	global_load_dwordx2 v[43:44], v[67:68], off
.LBB0_11:
	s_or_b64 exec, exec, s[6:7]
	s_waitcnt vmcnt(0)
	v_sub_f32_e32 v63, v14, v44
	v_add_f32_e32 v10, v13, v43
	s_mov_b32 s2, 0x3f6eb680
	v_mul_f32_e32 v3, 0xbeb8f4ab, v63
	v_sub_f32_e32 v66, v16, v42
	v_fma_f32 v4, v10, s2, -v3
	s_mov_b32 s3, 0x3f3d2fb0
	v_mul_f32_e32 v50, 0xbf2c7751, v63
	v_add_f32_e32 v46, v15, v41
	v_mul_f32_e32 v6, 0xbf2c7751, v66
	v_add_f32_e32 v4, v11, v4
	v_fma_f32 v5, v10, s3, -v50
	v_fma_f32 v9, v46, s3, -v6
	s_mov_b32 s3, 0x3dbcf732
	v_mul_f32_e32 v51, 0xbf7ee86f, v66
	v_add_f32_e32 v5, v11, v5
	v_add_f32_e32 v4, v9, v4
	v_fma_f32 v9, v46, s3, -v51
	v_sub_f32_e32 v67, v18, v34
	v_add_f32_e32 v5, v9, v5
	s_mov_b32 s6, 0x3ee437d1
	v_add_f32_e32 v48, v17, v33
	v_mul_f32_e32 v9, 0xbf65296c, v67
	v_fma_f32 v45, v48, s6, -v9
	s_mov_b32 s7, 0xbf1a4643
	v_mul_f32_e32 v54, 0xbf4c4adb, v67
	v_add_f32_e32 v4, v45, v4
	v_fma_f32 v45, v48, s7, -v54
	v_sub_f32_e32 v68, v20, v36
	v_add_f32_e32 v5, v45, v5
	v_add_f32_e32 v52, v19, v35
	v_mul_f32_e32 v45, 0xbf7ee86f, v68
	v_fma_f32 v47, v52, s3, -v45
	s_mov_b32 s3, 0xbf7ba420
	v_mul_f32_e32 v57, 0xbe3c28d5, v68
	v_add_f32_e32 v4, v47, v4
	v_fma_f32 v47, v52, s3, -v57
	v_sub_f32_e32 v69, v22, v38
	v_add_f32_e32 v5, v47, v5
	s_mov_b32 s10, 0xbe8c1d8e
	v_add_f32_e32 v56, v21, v37
	v_mul_f32_e32 v47, 0xbf763a35, v69
	v_fma_f32 v49, v56, s10, -v47
	s_mov_b32 s11, 0xbf59a7d5
	v_mul_f32_e32 v58, 0x3f06c442, v69
	v_add_f32_e32 v4, v4, v49
	v_fma_f32 v49, v56, s11, -v58
	v_sub_f32_e32 v70, v24, v32
	v_add_f32_e32 v5, v5, v49
	v_add_f32_e32 v59, v23, v31
	v_mul_f32_e32 v49, 0xbf4c4adb, v70
	v_fma_f32 v53, v59, s7, -v49
	v_mul_f32_e32 v60, 0x3f763a35, v70
	v_add_f32_e32 v4, v53, v4
	v_fma_f32 v53, v59, s10, -v60
	v_sub_f32_e32 v71, v26, v40
	v_add_f32_e32 v5, v53, v5
	v_add_f32_e32 v61, v25, v39
	v_mul_f32_e32 v53, 0xbf06c442, v71
	v_fma_f32 v55, v61, s11, -v53
	;; [unrolled: 8-line block ×3, first 2 shown]
	v_mul_f32_e32 v65, 0x3eb8f4ab, v72
	v_add_f32_e32 v5, v5, v4
	v_fma_f32 v4, v64, s2, -v65
	v_add_f32_e32 v4, v4, v73
	s_and_saveexec_b64 s[2:3], s[0:1]
	s_cbranch_execz .LBB0_13
; %bb.12:
	v_mul_f32_e32 v73, 0xbf7ba420, v10
	v_mov_b32_e32 v74, v73
	v_mul_f32_e32 v75, 0x3f6eb680, v46
	v_fmac_f32_e32 v74, 0x3e3c28d5, v63
	v_mov_b32_e32 v76, v75
	v_add_f32_e32 v74, v11, v74
	v_fmac_f32_e32 v76, 0xbeb8f4ab, v66
	v_add_f32_e32 v74, v76, v74
	v_mul_f32_e32 v76, 0xbf59a7d5, v48
	v_mov_b32_e32 v77, v76
	v_fmac_f32_e32 v77, 0x3f06c442, v67
	v_add_f32_e32 v74, v77, v74
	v_mul_f32_e32 v77, 0x3f3d2fb0, v52
	v_fmac_f32_e32 v73, 0xbe3c28d5, v63
	v_mov_b32_e32 v78, v77
	v_add_f32_e32 v73, v11, v73
	v_fmac_f32_e32 v75, 0x3eb8f4ab, v66
	v_fmac_f32_e32 v78, 0xbf2c7751, v68
	v_add_f32_e32 v73, v75, v73
	v_fmac_f32_e32 v76, 0xbf06c442, v67
	v_add_f32_e32 v74, v78, v74
	v_mul_f32_e32 v78, 0xbf1a4643, v56
	v_add_f32_e32 v73, v76, v73
	v_fmac_f32_e32 v77, 0x3f2c7751, v68
	v_mul_f32_e32 v75, 0xbf59a7d5, v10
	v_mov_b32_e32 v79, v78
	v_add_f32_e32 v73, v77, v73
	v_fmac_f32_e32 v78, 0xbf4c4adb, v69
	v_mov_b32_e32 v76, v75
	v_mul_f32_e32 v77, 0x3ee437d1, v46
	v_fmac_f32_e32 v79, 0x3f4c4adb, v69
	v_add_f32_e32 v73, v73, v78
	v_fmac_f32_e32 v76, 0x3f06c442, v63
	v_mov_b32_e32 v78, v77
	v_add_f32_e32 v74, v74, v79
	v_mul_f32_e32 v79, 0x3ee437d1, v59
	v_add_f32_e32 v76, v11, v76
	v_fmac_f32_e32 v78, 0xbf65296c, v66
	v_mov_b32_e32 v80, v79
	v_fmac_f32_e32 v79, 0x3f65296c, v70
	v_add_f32_e32 v76, v78, v76
	v_mul_f32_e32 v78, 0x3dbcf732, v48
	v_fmac_f32_e32 v80, 0xbf65296c, v70
	v_add_f32_e32 v73, v79, v73
	v_mov_b32_e32 v79, v78
	v_add_f32_e32 v74, v80, v74
	v_mul_f32_e32 v80, 0xbe8c1d8e, v61
	v_fmac_f32_e32 v79, 0x3f7ee86f, v67
	v_mov_b32_e32 v81, v80
	v_fmac_f32_e32 v80, 0xbf763a35, v71
	v_add_f32_e32 v76, v79, v76
	v_mul_f32_e32 v79, 0xbf1a4643, v52
	v_fmac_f32_e32 v75, 0xbf06c442, v63
	v_fmac_f32_e32 v81, 0x3f763a35, v71
	v_add_f32_e32 v73, v73, v80
	v_mov_b32_e32 v80, v79
	v_add_f32_e32 v75, v11, v75
	v_fmac_f32_e32 v77, 0x3f65296c, v66
	v_add_f32_e32 v74, v74, v81
	v_mul_f32_e32 v81, 0x3dbcf732, v64
	v_fmac_f32_e32 v80, 0xbf4c4adb, v68
	v_add_f32_e32 v75, v77, v75
	v_fmac_f32_e32 v78, 0xbf7ee86f, v67
	v_mov_b32_e32 v82, v81
	v_fmac_f32_e32 v81, 0x3f7ee86f, v72
	v_add_f32_e32 v76, v80, v76
	v_mul_f32_e32 v80, 0x3f6eb680, v56
	v_add_f32_e32 v75, v78, v75
	v_fmac_f32_e32 v79, 0x3f4c4adb, v68
	v_mul_f32_e32 v77, 0xbf1a4643, v10
	v_add_f32_e32 v73, v81, v73
	v_mov_b32_e32 v81, v80
	v_add_f32_e32 v75, v79, v75
	v_fmac_f32_e32 v80, 0xbeb8f4ab, v69
	v_mov_b32_e32 v78, v77
	v_mul_f32_e32 v79, 0xbe8c1d8e, v46
	v_fmac_f32_e32 v81, 0x3eb8f4ab, v69
	v_add_f32_e32 v75, v75, v80
	v_fmac_f32_e32 v78, 0x3f4c4adb, v63
	v_mov_b32_e32 v80, v79
	v_fmac_f32_e32 v82, 0xbf7ee86f, v72
	v_add_f32_e32 v76, v76, v81
	v_mul_f32_e32 v81, 0xbf7ba420, v59
	v_add_f32_e32 v78, v11, v78
	v_fmac_f32_e32 v80, 0xbf763a35, v66
	v_add_f32_e32 v74, v82, v74
	v_mov_b32_e32 v82, v81
	v_fmac_f32_e32 v81, 0xbe3c28d5, v70
	v_add_f32_e32 v78, v80, v78
	v_mul_f32_e32 v80, 0x3f6eb680, v48
	v_fmac_f32_e32 v82, 0x3e3c28d5, v70
	v_add_f32_e32 v75, v81, v75
	v_mov_b32_e32 v81, v80
	v_add_f32_e32 v76, v82, v76
	v_mul_f32_e32 v82, 0x3f3d2fb0, v61
	v_fmac_f32_e32 v81, 0x3eb8f4ab, v67
	v_mov_b32_e32 v83, v82
	v_fmac_f32_e32 v82, 0x3f2c7751, v71
	v_add_f32_e32 v78, v81, v78
	v_mul_f32_e32 v81, 0xbf59a7d5, v52
	v_fmac_f32_e32 v77, 0xbf4c4adb, v63
	v_fmac_f32_e32 v83, 0xbf2c7751, v71
	v_add_f32_e32 v75, v75, v82
	v_mov_b32_e32 v82, v81
	v_add_f32_e32 v77, v11, v77
	v_fmac_f32_e32 v79, 0x3f763a35, v66
	v_add_f32_e32 v76, v76, v83
	v_mul_f32_e32 v83, 0xbe8c1d8e, v64
	v_fmac_f32_e32 v82, 0x3f06c442, v68
	v_add_f32_e32 v77, v79, v77
	v_fmac_f32_e32 v80, 0xbeb8f4ab, v67
	v_mov_b32_e32 v84, v83
	v_fmac_f32_e32 v83, 0xbf763a35, v72
	v_add_f32_e32 v78, v82, v78
	v_mul_f32_e32 v82, 0x3dbcf732, v56
	v_add_f32_e32 v77, v80, v77
	v_fmac_f32_e32 v81, 0xbf06c442, v68
	v_mul_f32_e32 v79, 0xbe8c1d8e, v10
	v_add_f32_e32 v75, v83, v75
	v_mov_b32_e32 v83, v82
	v_add_f32_e32 v77, v81, v77
	v_fmac_f32_e32 v82, 0x3f7ee86f, v69
	v_mov_b32_e32 v80, v79
	v_mul_f32_e32 v81, 0xbf59a7d5, v46
	v_fmac_f32_e32 v83, 0xbf7ee86f, v69
	v_add_f32_e32 v77, v77, v82
	v_fmac_f32_e32 v80, 0x3f763a35, v63
	v_mov_b32_e32 v82, v81
	v_fmac_f32_e32 v84, 0x3f763a35, v72
	v_add_f32_e32 v78, v78, v83
	v_mul_f32_e32 v83, 0x3f3d2fb0, v59
	v_add_f32_e32 v80, v11, v80
	v_fmac_f32_e32 v82, 0xbf06c442, v66
	v_add_f32_e32 v76, v84, v76
	;; [unrolled: 48-line block ×3, first 2 shown]
	v_mov_b32_e32 v86, v85
	v_fmac_f32_e32 v85, 0x3f7ee86f, v70
	v_add_f32_e32 v82, v84, v82
	v_mul_f32_e32 v84, 0xbe8c1d8e, v48
	v_fmac_f32_e32 v86, 0xbf7ee86f, v70
	v_add_f32_e32 v79, v85, v79
	v_mov_b32_e32 v85, v84
	v_add_f32_e32 v80, v86, v80
	v_mul_f32_e32 v86, 0x3f6eb680, v61
	v_fmac_f32_e32 v85, 0xbf763a35, v67
	v_mov_b32_e32 v87, v86
	v_fmac_f32_e32 v86, 0xbeb8f4ab, v71
	v_add_f32_e32 v82, v85, v82
	v_mul_f32_e32 v85, 0x3f6eb680, v52
	v_fmac_f32_e32 v81, 0xbf7ee86f, v63
	v_fmac_f32_e32 v87, 0x3eb8f4ab, v71
	v_add_f32_e32 v79, v79, v86
	v_mov_b32_e32 v86, v85
	v_add_f32_e32 v81, v11, v81
	v_fmac_f32_e32 v83, 0xbe3c28d5, v66
	v_add_f32_e32 v80, v80, v87
	v_mul_f32_e32 v87, 0xbf1a4643, v64
	v_fmac_f32_e32 v86, 0xbeb8f4ab, v68
	v_add_f32_e32 v81, v83, v81
	v_fmac_f32_e32 v84, 0x3f763a35, v67
	v_mov_b32_e32 v88, v87
	v_fmac_f32_e32 v87, 0xbf4c4adb, v72
	v_add_f32_e32 v82, v86, v82
	v_mul_f32_e32 v86, 0x3ee437d1, v56
	v_add_f32_e32 v81, v84, v81
	v_fmac_f32_e32 v85, 0x3eb8f4ab, v68
	v_mul_f32_e32 v83, 0x3ee437d1, v10
	v_add_f32_e32 v79, v87, v79
	v_mov_b32_e32 v87, v86
	v_add_f32_e32 v81, v85, v81
	v_fmac_f32_e32 v86, 0xbf65296c, v69
	v_mov_b32_e32 v84, v83
	v_mul_f32_e32 v85, 0xbf1a4643, v46
	v_fmac_f32_e32 v87, 0x3f65296c, v69
	v_add_f32_e32 v81, v81, v86
	v_fmac_f32_e32 v84, 0x3f65296c, v63
	v_mov_b32_e32 v86, v85
	v_fmac_f32_e32 v88, 0x3f4c4adb, v72
	v_add_f32_e32 v82, v82, v87
	v_mul_f32_e32 v87, 0xbf59a7d5, v59
	v_add_f32_e32 v84, v11, v84
	v_fmac_f32_e32 v86, 0x3f4c4adb, v66
	v_fmac_f32_e32 v85, 0xbf4c4adb, v66
	v_mul_f32_e32 v66, 0x3f3d2fb0, v10
	v_add_f32_e32 v80, v88, v80
	v_mov_b32_e32 v88, v87
	v_fmac_f32_e32 v87, 0xbf06c442, v70
	v_add_f32_e32 v84, v86, v84
	v_mul_f32_e32 v86, 0xbf7ba420, v48
	v_add_f32_e32 v50, v50, v66
	v_mul_f32_e32 v66, 0x3dbcf732, v46
	v_fmac_f32_e32 v88, 0x3f06c442, v70
	v_add_f32_e32 v81, v87, v81
	v_mov_b32_e32 v87, v86
	v_add_f32_e32 v51, v51, v66
	v_add_f32_e32 v50, v11, v50
	;; [unrolled: 1-line block ×3, first 2 shown]
	v_mul_f32_e32 v88, 0xbf1a4643, v61
	v_fmac_f32_e32 v87, 0xbe3c28d5, v67
	v_add_f32_e32 v50, v51, v50
	v_mul_f32_e32 v51, 0xbf1a4643, v48
	v_mul_f32_e32 v10, 0x3f6eb680, v10
	v_mov_b32_e32 v89, v88
	v_fmac_f32_e32 v88, 0x3f4c4adb, v71
	v_add_f32_e32 v84, v87, v84
	v_mul_f32_e32 v87, 0xbe8c1d8e, v52
	v_add_f32_e32 v51, v54, v51
	v_mul_f32_e32 v46, 0x3f3d2fb0, v46
	v_add_f32_e32 v3, v3, v10
	v_fmac_f32_e32 v89, 0xbf4c4adb, v71
	v_add_f32_e32 v81, v81, v88
	v_mov_b32_e32 v88, v87
	v_add_f32_e32 v50, v51, v50
	v_mul_f32_e32 v51, 0xbf7ba420, v52
	v_mul_f32_e32 v48, 0x3ee437d1, v48
	v_add_f32_e32 v3, v11, v3
	v_add_f32_e32 v6, v6, v46
	;; [unrolled: 1-line block ×3, first 2 shown]
	v_mul_f32_e32 v89, 0x3f3d2fb0, v64
	v_fmac_f32_e32 v88, 0xbf763a35, v68
	v_add_f32_e32 v51, v57, v51
	v_mul_f32_e32 v52, 0x3dbcf732, v52
	v_add_f32_e32 v3, v6, v3
	v_add_f32_e32 v6, v9, v48
	v_mov_b32_e32 v90, v89
	v_fmac_f32_e32 v89, 0x3f2c7751, v72
	v_add_f32_e32 v84, v88, v84
	v_mul_f32_e32 v88, 0x3f3d2fb0, v56
	v_add_f32_e32 v50, v51, v50
	v_mul_f32_e32 v51, 0xbe8c1d8e, v56
	v_mul_f32_e32 v54, 0xbf59a7d5, v56
	v_add_f32_e32 v3, v6, v3
	v_add_f32_e32 v6, v45, v52
	;; [unrolled: 1-line block ×3, first 2 shown]
	v_mov_b32_e32 v89, v88
	v_add_f32_e32 v54, v58, v54
	v_mul_f32_e32 v56, 0xbf1a4643, v59
	v_add_f32_e32 v3, v6, v3
	v_add_f32_e32 v6, v47, v51
	v_fmac_f32_e32 v89, 0xbf2c7751, v69
	v_add_f32_e32 v50, v50, v54
	v_mul_f32_e32 v54, 0xbf59a7d5, v61
	v_add_f32_e32 v3, v3, v6
	v_add_f32_e32 v6, v49, v56
	v_add_f32_e32 v84, v84, v89
	v_mul_f32_e32 v89, 0x3f6eb680, v59
	v_mul_f32_e32 v57, 0xbe8c1d8e, v59
	;; [unrolled: 1-line block ×3, first 2 shown]
	v_add_f32_e32 v3, v6, v3
	v_add_f32_e32 v6, v53, v54
	v_add_f32_e32 v3, v3, v6
	v_add_f32_e32 v6, v55, v59
	v_add_f32_e32 v3, v6, v3
	v_add_f32_e32 v6, v11, v13
	v_add_f32_e32 v6, v6, v15
	v_add_f32_e32 v6, v6, v17
	v_add_f32_e32 v6, v6, v19
	v_add_f32_e32 v6, v6, v21
	v_add_f32_e32 v6, v6, v23
	v_add_f32_e32 v6, v6, v25
	v_fmac_f32_e32 v90, 0xbf2c7751, v72
	v_add_f32_e32 v6, v6, v27
	v_add_f32_e32 v82, v90, v82
	v_mov_b32_e32 v90, v89
	v_fmac_f32_e32 v83, 0xbf65296c, v63
	v_add_f32_e32 v6, v6, v29
	v_fmac_f32_e32 v90, 0x3eb8f4ab, v70
	v_add_f32_e32 v63, v11, v83
	v_add_f32_e32 v6, v6, v39
	v_add_f32_e32 v84, v90, v84
	v_mul_f32_e32 v90, 0x3dbcf732, v61
	v_add_f32_e32 v63, v85, v63
	v_fmac_f32_e32 v86, 0x3e3c28d5, v67
	v_add_f32_e32 v6, v31, v6
	v_mov_b32_e32 v91, v90
	v_add_f32_e32 v63, v86, v63
	v_fmac_f32_e32 v87, 0x3f763a35, v68
	v_add_f32_e32 v6, v37, v6
	v_fmac_f32_e32 v91, 0x3f7ee86f, v71
	;; [unrolled: 2-line block ×3, first 2 shown]
	v_add_f32_e32 v6, v35, v6
	v_add_f32_e32 v84, v84, v91
	v_mul_f32_e32 v91, 0xbf59a7d5, v64
	v_add_f32_e32 v63, v63, v88
	v_fmac_f32_e32 v89, 0xbeb8f4ab, v70
	v_mul_f32_e32 v58, 0x3ee437d1, v61
	v_add_f32_e32 v57, v60, v57
	v_add_f32_e32 v6, v33, v6
	v_mov_b32_e32 v92, v91
	v_add_f32_e32 v63, v89, v63
	v_fmac_f32_e32 v90, 0xbf7ee86f, v71
	v_mul_f32_e32 v60, 0x3f6eb680, v64
	v_add_f32_e32 v50, v57, v50
	v_add_f32_e32 v57, v62, v58
	;; [unrolled: 1-line block ×3, first 2 shown]
	s_movk_i32 s6, 0x44
	v_fmac_f32_e32 v92, 0x3f06c442, v72
	v_add_f32_e32 v63, v63, v90
	v_fmac_f32_e32 v91, 0xbf06c442, v72
	v_add_f32_e32 v50, v50, v57
	v_add_f32_e32 v57, v65, v60
	;; [unrolled: 1-line block ×3, first 2 shown]
	v_mad_u32_u24 v9, v0, s6, 0
	v_add_f32_e32 v84, v92, v84
	v_add_f32_e32 v63, v91, v63
	;; [unrolled: 1-line block ×3, first 2 shown]
	ds_write2_b32 v9, v6, v3 offset1:1
	ds_write2_b32 v9, v50, v63 offset0:2 offset1:3
	ds_write2_b32 v9, v81, v79 offset0:4 offset1:5
	;; [unrolled: 1-line block ×7, first 2 shown]
	ds_write_b32 v9, v5 offset:64
.LBB0_13:
	s_or_b64 exec, exec, s[2:3]
	v_sub_f32_e32 v75, v13, v43
	v_mul_f32_e32 v78, 0xbeb8f4ab, v75
	v_sub_f32_e32 v71, v15, v41
	v_add_f32_e32 v74, v14, v44
	v_mov_b32_e32 v3, v78
	v_mul_f32_e32 v76, 0xbf2c7751, v71
	v_fmac_f32_e32 v3, 0x3f6eb680, v74
	v_mul_f32_e32 v79, 0xbf2c7751, v75
	v_add_f32_e32 v70, v16, v42
	v_mov_b32_e32 v9, v76
	v_add_f32_e32 v3, v12, v3
	v_mov_b32_e32 v6, v79
	v_fmac_f32_e32 v9, 0x3f3d2fb0, v70
	v_mul_f32_e32 v77, 0xbf7ee86f, v71
	v_fmac_f32_e32 v6, 0x3f3d2fb0, v74
	v_add_f32_e32 v3, v9, v3
	v_mov_b32_e32 v9, v77
	v_sub_f32_e32 v67, v17, v33
	v_add_f32_e32 v6, v12, v6
	v_fmac_f32_e32 v9, 0x3dbcf732, v70
	v_mul_f32_e32 v72, 0xbf65296c, v67
	v_add_f32_e32 v6, v9, v6
	v_add_f32_e32 v66, v18, v34
	v_mov_b32_e32 v9, v72
	v_fmac_f32_e32 v9, 0x3ee437d1, v66
	v_mul_f32_e32 v73, 0xbf4c4adb, v67
	v_add_f32_e32 v3, v9, v3
	v_mov_b32_e32 v9, v73
	v_sub_f32_e32 v63, v19, v35
	v_fmac_f32_e32 v9, 0xbf1a4643, v66
	v_mul_f32_e32 v68, 0xbf7ee86f, v63
	v_add_f32_e32 v6, v9, v6
	v_add_f32_e32 v62, v20, v36
	v_mov_b32_e32 v9, v68
	v_fmac_f32_e32 v9, 0x3dbcf732, v62
	v_mul_f32_e32 v69, 0xbe3c28d5, v63
	v_add_f32_e32 v3, v9, v3
	v_mov_b32_e32 v9, v69
	v_sub_f32_e32 v43, v21, v37
	v_fmac_f32_e32 v9, 0xbf7ba420, v62
	v_mul_f32_e32 v64, 0xbf763a35, v43
	v_add_f32_e32 v6, v9, v6
	v_add_f32_e32 v41, v22, v38
	v_mov_b32_e32 v9, v64
	v_fmac_f32_e32 v9, 0xbe8c1d8e, v41
	v_mul_f32_e32 v65, 0x3f06c442, v43
	v_add_f32_e32 v3, v3, v9
	v_mov_b32_e32 v9, v65
	v_sub_f32_e32 v35, v23, v31
	v_fmac_f32_e32 v9, 0xbf59a7d5, v41
	v_mul_f32_e32 v59, 0xbf4c4adb, v35
	v_add_f32_e32 v6, v6, v9
	v_add_f32_e32 v33, v24, v32
	v_mov_b32_e32 v9, v59
	v_fmac_f32_e32 v9, 0xbf1a4643, v33
	v_mul_f32_e32 v60, 0x3f763a35, v35
	v_add_f32_e32 v3, v9, v3
	v_mov_b32_e32 v9, v60
	v_sub_f32_e32 v25, v25, v39
	v_fmac_f32_e32 v9, 0xbe8c1d8e, v33
	v_mul_f32_e32 v37, 0xbf06c442, v25
	v_add_f32_e32 v6, v9, v6
	v_add_f32_e32 v17, v26, v40
	v_mov_b32_e32 v9, v37
	v_fmac_f32_e32 v9, 0xbf59a7d5, v17
	v_mul_f32_e32 v39, 0x3f65296c, v25
	v_add_f32_e32 v3, v3, v9
	v_mov_b32_e32 v9, v39
	v_sub_f32_e32 v15, v27, v29
	v_fmac_f32_e32 v9, 0x3ee437d1, v17
	v_mul_f32_e32 v27, 0xbe3c28d5, v15
	v_add_f32_e32 v10, v6, v9
	v_add_f32_e32 v13, v28, v30
	v_mov_b32_e32 v6, v27
	v_fmac_f32_e32 v6, 0xbf7ba420, v13
	v_lshl_add_u32 v61, v0, 2, 0
	v_add_f32_e32 v11, v6, v3
	v_add_u32_e32 v9, 0x600, v61
	v_add_u32_e32 v6, 0x1200, v61
	;; [unrolled: 1-line block ×6, first 2 shown]
	s_waitcnt lgkmcnt(0)
	s_barrier
	ds_read2_b32 v[49:50], v61 offset1:119
	ds_read2_b32 v[45:46], v9 offset0:92 offset1:211
	ds_read2_b32 v[57:58], v6 offset0:38 offset1:157
	;; [unrolled: 1-line block ×6, first 2 shown]
	ds_read_b32 v3, v61 offset:6664
	v_mul_f32_e32 v31, 0x3eb8f4ab, v15
	v_mov_b32_e32 v80, v31
	v_fmac_f32_e32 v80, 0x3f6eb680, v13
	v_add_f32_e32 v10, v80, v10
	s_waitcnt lgkmcnt(0)
	s_barrier
	s_and_saveexec_b64 s[2:3], s[0:1]
	s_cbranch_execz .LBB0_15
; %bb.14:
	v_add_f32_e32 v14, v12, v14
	v_add_f32_e32 v14, v14, v16
	;; [unrolled: 1-line block ×13, first 2 shown]
	v_mul_f32_e32 v80, 0x3f6eb680, v74
	v_mul_f32_e32 v81, 0x3f3d2fb0, v74
	v_add_f32_e32 v14, v34, v14
	v_mul_f32_e32 v20, 0xbf65296c, v75
	s_mov_b32 s1, 0x3ee437d1
	v_mul_f32_e32 v24, 0xbf7ee86f, v75
	s_mov_b32 s0, 0x3dbcf732
	;; [unrolled: 2-line block ×3, first 2 shown]
	v_mul_f32_e32 v32, 0xbf4c4adb, v75
	v_mul_f32_e32 v36, 0xbf06c442, v75
	s_mov_b32 s10, 0xbf59a7d5
	v_mul_f32_e32 v40, 0xbe3c28d5, v75
	s_mov_b32 s11, 0xbf7ba420
	v_mul_f32_e32 v82, 0x3f3d2fb0, v70
	v_add_f32_e32 v14, v42, v14
	v_sub_f32_e32 v16, v80, v78
	v_sub_f32_e32 v18, v81, v79
	v_fma_f32 v22, v74, s1, -v20
	v_fmac_f32_e32 v20, 0x3ee437d1, v74
	v_fma_f32 v26, v74, s0, -v24
	v_fmac_f32_e32 v24, 0x3dbcf732, v74
	;; [unrolled: 2-line block ×6, first 2 shown]
	v_mul_f32_e32 v83, 0x3dbcf732, v70
	v_add_f32_e32 v16, v12, v16
	v_add_f32_e32 v18, v12, v18
	;; [unrolled: 1-line block ×14, first 2 shown]
	v_sub_f32_e32 v40, v82, v76
	v_add_f32_e32 v16, v40, v16
	v_sub_f32_e32 v40, v83, v77
	v_add_f32_e32 v18, v40, v18
	v_mul_f32_e32 v40, 0xbf4c4adb, v71
	v_add_f32_e32 v14, v44, v14
	v_fma_f32 v44, v70, s7, -v40
	v_fmac_f32_e32 v40, 0xbf1a4643, v70
	v_add_f32_e32 v20, v40, v20
	v_mul_f32_e32 v40, 0xbe3c28d5, v71
	v_add_f32_e32 v22, v44, v22
	v_fma_f32 v44, v70, s11, -v40
	v_fmac_f32_e32 v40, 0xbf7ba420, v70
	;; [unrolled: 5-line block ×5, first 2 shown]
	v_add_f32_e32 v36, v40, v36
	v_mul_f32_e32 v40, 0x3eb8f4ab, v71
	s_mov_b32 s13, 0x3f6eb680
	v_mul_f32_e32 v84, 0x3ee437d1, v66
	v_add_f32_e32 v38, v44, v38
	v_fma_f32 v44, v70, s13, -v40
	v_fmac_f32_e32 v40, 0x3f6eb680, v70
	v_mul_f32_e32 v85, 0xbf1a4643, v66
	v_add_f32_e32 v12, v40, v12
	v_sub_f32_e32 v40, v84, v72
	v_add_f32_e32 v16, v40, v16
	v_sub_f32_e32 v40, v85, v73
	v_add_f32_e32 v18, v40, v18
	v_mul_f32_e32 v40, 0x3e3c28d5, v67
	v_add_f32_e32 v42, v44, v42
	v_fma_f32 v44, v66, s11, -v40
	v_fmac_f32_e32 v40, 0xbf7ba420, v66
	v_add_f32_e32 v20, v40, v20
	v_mul_f32_e32 v40, 0x3f763a35, v67
	v_add_f32_e32 v22, v44, v22
	v_fma_f32 v44, v66, s6, -v40
	v_fmac_f32_e32 v40, 0xbe8c1d8e, v66
	v_add_f32_e32 v24, v40, v24
	v_mul_f32_e32 v40, 0x3f2c7751, v67
	s_mov_b32 s12, 0x3f3d2fb0
	v_add_f32_e32 v26, v44, v26
	v_fma_f32 v44, v66, s12, -v40
	v_fmac_f32_e32 v40, 0x3f3d2fb0, v66
	v_add_f32_e32 v28, v40, v28
	v_mul_f32_e32 v40, 0xbeb8f4ab, v67
	v_add_f32_e32 v30, v44, v30
	v_fma_f32 v44, v66, s13, -v40
	v_fmac_f32_e32 v40, 0x3f6eb680, v66
	v_add_f32_e32 v32, v40, v32
	v_mul_f32_e32 v40, 0xbf7ee86f, v67
	;; [unrolled: 5-line block ×3, first 2 shown]
	v_mul_f32_e32 v86, 0x3dbcf732, v62
	v_add_f32_e32 v38, v44, v38
	v_fma_f32 v44, v66, s10, -v40
	v_fmac_f32_e32 v40, 0xbf59a7d5, v66
	v_mul_f32_e32 v87, 0xbf7ba420, v62
	v_add_f32_e32 v12, v40, v12
	v_sub_f32_e32 v40, v86, v68
	v_add_f32_e32 v16, v40, v16
	v_sub_f32_e32 v40, v87, v69
	v_add_f32_e32 v18, v40, v18
	v_mul_f32_e32 v40, 0x3f763a35, v63
	v_add_f32_e32 v42, v44, v42
	v_fma_f32 v44, v62, s6, -v40
	v_fmac_f32_e32 v40, 0xbe8c1d8e, v62
	v_add_f32_e32 v20, v40, v20
	v_mul_f32_e32 v40, 0x3eb8f4ab, v63
	v_add_f32_e32 v22, v44, v22
	v_fma_f32 v44, v62, s13, -v40
	v_fmac_f32_e32 v40, 0x3f6eb680, v62
	;; [unrolled: 5-line block ×5, first 2 shown]
	v_add_f32_e32 v36, v40, v36
	v_mul_f32_e32 v40, 0x3f2c7751, v63
	v_mul_f32_e32 v88, 0xbe8c1d8e, v41
	v_add_f32_e32 v38, v44, v38
	v_fma_f32 v44, v62, s12, -v40
	v_fmac_f32_e32 v40, 0x3f3d2fb0, v62
	v_mul_f32_e32 v89, 0xbf59a7d5, v41
	v_add_f32_e32 v12, v40, v12
	v_sub_f32_e32 v40, v88, v64
	v_add_f32_e32 v16, v16, v40
	v_sub_f32_e32 v40, v89, v65
	v_add_f32_e32 v18, v18, v40
	v_mul_f32_e32 v40, 0x3f2c7751, v43
	v_add_f32_e32 v42, v44, v42
	v_fma_f32 v44, v41, s12, -v40
	v_fmac_f32_e32 v40, 0x3f3d2fb0, v41
	v_add_f32_e32 v20, v20, v40
	v_mul_f32_e32 v40, 0xbf65296c, v43
	v_add_f32_e32 v22, v22, v44
	v_fma_f32 v44, v41, s1, -v40
	v_fmac_f32_e32 v40, 0x3ee437d1, v41
	;; [unrolled: 5-line block ×5, first 2 shown]
	v_add_f32_e32 v36, v36, v40
	v_mul_f32_e32 v40, 0xbf4c4adb, v43
	v_mul_f32_e32 v90, 0xbf1a4643, v33
	v_fma_f32 v43, v41, s7, -v40
	v_fmac_f32_e32 v40, 0xbf1a4643, v41
	v_mul_f32_e32 v91, 0xbe8c1d8e, v33
	v_add_f32_e32 v12, v12, v40
	v_sub_f32_e32 v40, v90, v59
	v_add_f32_e32 v16, v40, v16
	v_sub_f32_e32 v40, v91, v60
	v_add_f32_e32 v18, v40, v18
	v_mul_f32_e32 v40, 0xbeb8f4ab, v35
	v_fma_f32 v41, v33, s13, -v40
	v_fmac_f32_e32 v40, 0x3f6eb680, v33
	v_add_f32_e32 v20, v40, v20
	v_mul_f32_e32 v40, 0xbf06c442, v35
	v_add_f32_e32 v22, v41, v22
	v_fma_f32 v41, v33, s10, -v40
	v_fmac_f32_e32 v40, 0xbf59a7d5, v33
	v_add_f32_e32 v24, v40, v24
	v_mul_f32_e32 v40, 0x3f7ee86f, v35
	v_add_f32_e32 v26, v41, v26
	;; [unrolled: 5-line block ×3, first 2 shown]
	v_fma_f32 v41, v33, s12, -v40
	v_fmac_f32_e32 v40, 0x3f3d2fb0, v33
	v_add_f32_e32 v32, v40, v32
	v_mul_f32_e32 v40, 0xbe3c28d5, v35
	v_mul_f32_e32 v92, 0xbf59a7d5, v17
	v_add_f32_e32 v34, v41, v34
	v_fma_f32 v41, v33, s11, -v40
	v_fmac_f32_e32 v40, 0xbf7ba420, v33
	v_mul_f32_e32 v35, 0x3f65296c, v35
	v_mul_f32_e32 v93, 0x3ee437d1, v17
	v_add_f32_e32 v36, v40, v36
	v_fma_f32 v40, v33, s1, -v35
	v_fmac_f32_e32 v35, 0x3ee437d1, v33
	v_sub_f32_e32 v33, v92, v37
	v_add_f32_e32 v16, v16, v33
	v_sub_f32_e32 v33, v93, v39
	v_add_f32_e32 v18, v18, v33
	v_mul_f32_e32 v33, 0xbf7ee86f, v25
	v_add_f32_e32 v12, v35, v12
	v_fma_f32 v35, v17, s0, -v33
	v_fmac_f32_e32 v33, 0x3dbcf732, v17
	v_add_f32_e32 v20, v20, v33
	v_mul_f32_e32 v33, 0x3f4c4adb, v25
	v_add_f32_e32 v22, v22, v35
	v_fma_f32 v35, v17, s7, -v33
	v_fmac_f32_e32 v33, 0xbf1a4643, v17
	;; [unrolled: 5-line block ×4, first 2 shown]
	v_add_f32_e32 v32, v32, v33
	v_mul_f32_e32 v33, 0x3f2c7751, v25
	v_mul_f32_e32 v94, 0xbf7ba420, v13
	v_add_f32_e32 v34, v34, v35
	v_fma_f32 v35, v17, s12, -v33
	v_fmac_f32_e32 v33, 0x3f3d2fb0, v17
	v_mul_f32_e32 v25, 0xbf763a35, v25
	v_mul_f32_e32 v95, 0x3f6eb680, v13
	v_add_f32_e32 v33, v36, v33
	v_fma_f32 v36, v17, s6, -v25
	v_fmac_f32_e32 v25, 0xbe8c1d8e, v17
	v_sub_f32_e32 v17, v94, v27
	v_add_f32_e32 v16, v17, v16
	v_sub_f32_e32 v17, v95, v31
	v_add_f32_e32 v17, v17, v18
	v_mul_f32_e32 v18, 0xbf06c442, v15
	v_add_f32_e32 v12, v12, v25
	v_fma_f32 v25, v13, s10, -v18
	v_fmac_f32_e32 v18, 0xbf59a7d5, v13
	v_add_f32_e32 v18, v18, v20
	v_mul_f32_e32 v20, 0x3f2c7751, v15
	v_add_f32_e32 v22, v25, v22
	v_fma_f32 v25, v13, s12, -v20
	v_fmac_f32_e32 v20, 0x3f3d2fb0, v13
	v_add_f32_e32 v20, v20, v24
	v_mul_f32_e32 v24, 0xbf4c4adb, v15
	v_add_f32_e32 v38, v38, v44
	v_add_f32_e32 v42, v42, v43
	;; [unrolled: 1-line block ×3, first 2 shown]
	v_fma_f32 v26, v13, s7, -v24
	v_fmac_f32_e32 v24, 0xbf1a4643, v13
	v_mul_f32_e32 v27, 0x3f65296c, v15
	v_add_f32_e32 v38, v41, v38
	v_add_f32_e32 v40, v40, v42
	;; [unrolled: 1-line block ×4, first 2 shown]
	v_fma_f32 v28, v13, s1, -v27
	v_fmac_f32_e32 v27, 0x3ee437d1, v13
	v_mul_f32_e32 v30, 0xbf763a35, v15
	v_mul_f32_e32 v15, 0x3f7ee86f, v15
	v_add_f32_e32 v35, v38, v35
	v_add_f32_e32 v36, v40, v36
	;; [unrolled: 1-line block ×3, first 2 shown]
	v_fma_f32 v31, v13, s6, -v30
	v_fmac_f32_e32 v30, 0xbe8c1d8e, v13
	v_fma_f32 v32, v13, s0, -v15
	v_fmac_f32_e32 v15, 0x3dbcf732, v13
	v_lshl_add_u32 v13, v0, 6, v61
	v_add_f32_e32 v28, v28, v34
	v_add_f32_e32 v31, v31, v35
	;; [unrolled: 1-line block ×5, first 2 shown]
	ds_write2_b32 v13, v14, v16 offset1:1
	ds_write2_b32 v13, v17, v22 offset0:2 offset1:3
	ds_write2_b32 v13, v25, v26 offset0:4 offset1:5
	;; [unrolled: 1-line block ×7, first 2 shown]
	ds_write_b32 v13, v11 offset:64
.LBB0_15:
	s_or_b64 exec, exec, s[2:3]
	s_movk_i32 s0, 0xf1
	v_add_u32_e32 v60, 0x77, v0
	v_mul_lo_u16_sdwa v12, v0, s0 dst_sel:DWORD dst_unused:UNUSED_PAD src0_sel:BYTE_0 src1_sel:DWORD
	v_lshrrev_b16_e32 v18, 12, v12
	v_mul_lo_u16_sdwa v13, v60, s0 dst_sel:DWORD dst_unused:UNUSED_PAD src0_sel:BYTE_0 src1_sel:DWORD
	v_mul_lo_u16_e32 v12, 17, v18
	v_lshrrev_b16_e32 v28, 12, v13
	v_sub_u16_e32 v20, v0, v12
	v_mov_b32_e32 v12, 4
	v_mul_lo_u16_e32 v13, 17, v28
	v_add_u32_e32 v59, 0xee, v0
	v_lshlrev_b32_sdwa v22, v12, v20 dst_sel:DWORD dst_unused:UNUSED_PAD src0_sel:DWORD src1_sel:BYTE_0
	v_sub_u16_e32 v44, v60, v13
	s_mov_b32 s0, 0xf0f1
	s_load_dwordx2 s[2:3], s[4:5], 0x0
	s_waitcnt lgkmcnt(0)
	s_barrier
	v_lshlrev_b32_sdwa v30, v12, v44 dst_sel:DWORD dst_unused:UNUSED_PAD src0_sel:DWORD src1_sel:BYTE_0
	global_load_dwordx4 v[12:15], v22, s[8:9]
	global_load_dwordx4 v[24:27], v30, s[8:9]
	v_mul_u32_u24_sdwa v22, v59, s0 dst_sel:DWORD dst_unused:UNUSED_PAD src0_sel:WORD_0 src1_sel:DWORD
	v_add_u32_e32 v16, 0x165, v0
	v_lshrrev_b32_e32 v22, 20, v22
	v_mul_lo_u16_e32 v30, 17, v22
	v_mul_u32_u24_sdwa v31, v16, s0 dst_sel:DWORD dst_unused:UNUSED_PAD src0_sel:WORD_0 src1_sel:DWORD
	v_sub_u16_e32 v72, v59, v30
	v_lshrrev_b32_e32 v73, 20, v31
	v_lshlrev_b32_e32 v30, 4, v72
	v_mul_lo_u16_e32 v31, 17, v73
	v_sub_u16_e32 v74, v16, v31
	global_load_dwordx4 v[30:33], v30, s[8:9]
	v_lshlrev_b32_e32 v16, 4, v74
	global_load_dwordx4 v[34:37], v16, s[8:9]
	v_add_u32_e32 v17, 0x1dc, v0
	v_mul_u32_u24_sdwa v16, v17, s0 dst_sel:DWORD dst_unused:UNUSED_PAD src0_sel:WORD_0 src1_sel:DWORD
	v_lshrrev_b32_e32 v75, 20, v16
	v_mul_lo_u16_e32 v16, 17, v75
	v_sub_u16_e32 v76, v17, v16
	v_lshlrev_b32_e32 v16, 4, v76
	global_load_dwordx4 v[38:41], v16, s[8:9]
	ds_read2_b32 v[16:17], v61 offset1:119
	ds_read2_b32 v[42:43], v9 offset0:92 offset1:211
	ds_read2_b32 v[62:63], v6 offset0:38 offset1:157
	;; [unrolled: 1-line block ×6, first 2 shown]
	ds_read_b32 v77, v61 offset:6664
	s_waitcnt vmcnt(0) lgkmcnt(0)
	s_barrier
	s_movk_i32 s0, 0xa1
	v_mul_f32_e32 v78, v43, v13
	v_mul_f32_e32 v79, v62, v15
	;; [unrolled: 1-line block ×6, first 2 shown]
	v_fmac_f32_e32 v78, v46, v12
	v_fmac_f32_e32 v79, v57, v14
	v_fma_f32 v12, v43, v12, -v13
	v_fma_f32 v13, v62, v14, -v15
	v_fma_f32 v14, v64, v24, -v25
	v_mul_f32_e32 v81, v63, v27
	v_mul_f32_e32 v83, v68, v33
	;; [unrolled: 1-line block ×3, first 2 shown]
	v_fmac_f32_e32 v83, v53, v32
	v_fma_f32 v25, v68, v32, -v33
	v_add_f32_e32 v32, v78, v79
	v_mul_f32_e32 v27, v58, v27
	v_mul_f32_e32 v84, v70, v35
	;; [unrolled: 1-line block ×3, first 2 shown]
	v_fma_f32 v32, -0.5, v32, v49
	v_fmac_f32_e32 v81, v58, v26
	v_fma_f32 v15, v63, v26, -v27
	v_fmac_f32_e32 v84, v51, v34
	v_fma_f32 v26, v70, v34, -v35
	v_sub_f32_e32 v33, v12, v13
	v_mov_b32_e32 v34, v32
	v_fmac_f32_e32 v34, 0xbf5db3d7, v33
	v_fmac_f32_e32 v32, 0x3f5db3d7, v33
	v_add_f32_e32 v33, v16, v12
	v_add_f32_e32 v12, v12, v13
	v_fmac_f32_e32 v80, v55, v24
	v_fma_f32 v12, -0.5, v12, v16
	v_add_f32_e32 v33, v33, v13
	v_sub_f32_e32 v13, v78, v79
	v_mov_b32_e32 v16, v12
	v_add_f32_e32 v35, v80, v81
	v_mul_f32_e32 v85, v69, v37
	v_mul_f32_e32 v37, v54, v37
	v_fmac_f32_e32 v16, 0x3f5db3d7, v13
	v_fmac_f32_e32 v12, 0xbf5db3d7, v13
	v_add_f32_e32 v13, v50, v80
	v_fmac_f32_e32 v50, -0.5, v35
	v_mul_f32_e32 v82, v65, v31
	v_fmac_f32_e32 v85, v54, v36
	v_fma_f32 v27, v69, v36, -v37
	v_sub_f32_e32 v35, v14, v15
	v_mov_b32_e32 v36, v50
	v_fmac_f32_e32 v82, v56, v30
	v_fmac_f32_e32 v36, 0xbf5db3d7, v35
	;; [unrolled: 1-line block ×3, first 2 shown]
	v_add_f32_e32 v35, v17, v14
	v_mul_f32_e32 v31, v56, v31
	v_add_f32_e32 v37, v35, v15
	v_add_f32_e32 v35, v82, v83
	v_mul_f32_e32 v86, v71, v39
	v_mul_f32_e32 v39, v52, v39
	v_fma_f32 v24, v65, v30, -v31
	v_fma_f32 v35, -0.5, v35, v47
	v_fmac_f32_e32 v86, v52, v38
	v_fma_f32 v30, v71, v38, -v39
	v_sub_f32_e32 v38, v24, v25
	v_mov_b32_e32 v39, v35
	v_fmac_f32_e32 v39, 0xbf5db3d7, v38
	v_fmac_f32_e32 v35, 0x3f5db3d7, v38
	v_add_f32_e32 v38, v66, v24
	v_add_f32_e32 v24, v24, v25
	v_mul_f32_e32 v87, v77, v41
	v_mul_f32_e32 v41, v3, v41
	v_fma_f32 v24, -0.5, v24, v66
	v_fmac_f32_e32 v87, v3, v40
	v_fma_f32 v3, v77, v40, -v41
	v_add_f32_e32 v38, v38, v25
	v_sub_f32_e32 v25, v82, v83
	v_mov_b32_e32 v43, v24
	v_add_f32_e32 v40, v84, v85
	v_fmac_f32_e32 v43, 0x3f5db3d7, v25
	v_fmac_f32_e32 v24, 0xbf5db3d7, v25
	v_add_f32_e32 v25, v48, v84
	v_fmac_f32_e32 v48, -0.5, v40
	v_add_f32_e32 v14, v14, v15
	v_sub_f32_e32 v40, v26, v27
	v_mov_b32_e32 v41, v48
	v_fmac_f32_e32 v17, -0.5, v14
	v_fmac_f32_e32 v41, 0xbf5db3d7, v40
	v_fmac_f32_e32 v48, 0x3f5db3d7, v40
	v_add_f32_e32 v40, v67, v26
	v_add_f32_e32 v26, v26, v27
	v_sub_f32_e32 v14, v80, v81
	v_mov_b32_e32 v15, v17
	v_fmac_f32_e32 v67, -0.5, v26
	v_fmac_f32_e32 v15, 0x3f5db3d7, v14
	v_fmac_f32_e32 v17, 0xbf5db3d7, v14
	v_add_f32_e32 v14, v47, v82
	v_add_f32_e32 v47, v40, v27
	v_sub_f32_e32 v26, v84, v85
	v_mov_b32_e32 v27, v67
	v_add_f32_e32 v40, v86, v87
	v_fmac_f32_e32 v27, 0x3f5db3d7, v26
	v_fmac_f32_e32 v67, 0xbf5db3d7, v26
	v_add_f32_e32 v26, v45, v86
	v_fmac_f32_e32 v45, -0.5, v40
	v_sub_f32_e32 v40, v30, v3
	v_mov_b32_e32 v46, v45
	v_fmac_f32_e32 v46, 0xbf5db3d7, v40
	v_fmac_f32_e32 v45, 0x3f5db3d7, v40
	v_add_f32_e32 v40, v42, v30
	v_add_f32_e32 v31, v49, v78
	;; [unrolled: 1-line block ×4, first 2 shown]
	v_fmac_f32_e32 v42, -0.5, v3
	v_sub_f32_e32 v3, v86, v87
	v_mov_b32_e32 v30, v42
	v_mov_b32_e32 v56, 2
	v_fmac_f32_e32 v30, 0x3f5db3d7, v3
	v_fmac_f32_e32 v42, 0xbf5db3d7, v3
	v_mul_u32_u24_e32 v3, 0xcc, v18
	v_lshlrev_b32_sdwa v18, v56, v20 dst_sel:DWORD dst_unused:UNUSED_PAD src0_sel:DWORD src1_sel:BYTE_0
	v_add3_u32 v3, 0, v3, v18
	v_mul_u32_u24_e32 v18, 0xcc, v28
	v_lshlrev_b32_sdwa v20, v56, v44 dst_sel:DWORD dst_unused:UNUSED_PAD src0_sel:DWORD src1_sel:BYTE_0
	v_add_f32_e32 v31, v31, v79
	v_add_f32_e32 v13, v13, v81
	v_add3_u32 v18, 0, v18, v20
	ds_write2_b32 v3, v31, v34 offset1:17
	ds_write_b32 v3, v32 offset:136
	ds_write2_b32 v18, v13, v36 offset1:17
	ds_write_b32 v18, v50 offset:136
	v_mul_u32_u24_e32 v13, 0xcc, v22
	v_lshlrev_b32_e32 v20, 2, v72
	v_add_f32_e32 v14, v14, v83
	v_add3_u32 v13, 0, v13, v20
	ds_write2_b32 v13, v14, v39 offset1:17
	ds_write_b32 v13, v35 offset:136
	v_mul_u32_u24_e32 v14, 0xcc, v73
	v_lshlrev_b32_e32 v20, 2, v74
	v_add3_u32 v14, 0, v14, v20
	v_mul_u32_u24_e32 v20, 0xcc, v75
	v_lshlrev_b32_e32 v22, 2, v76
	v_add_f32_e32 v25, v25, v85
	v_add_f32_e32 v26, v26, v87
	v_add3_u32 v20, 0, v20, v22
	ds_write2_b32 v14, v25, v41 offset1:17
	ds_write_b32 v14, v48 offset:136
	ds_write2_b32 v20, v26, v46 offset1:17
	ds_write_b32 v20, v45 offset:136
	s_waitcnt lgkmcnt(0)
	s_barrier
	ds_read2_b32 v[57:58], v61 offset1:119
	ds_read2_b32 v[45:46], v19 offset0:110 offset1:229
	ds_read2_b32 v[34:35], v21 offset0:74 offset1:193
	;; [unrolled: 1-line block ×6, first 2 shown]
	ds_read_b32 v22, v61 offset:6664
	s_waitcnt lgkmcnt(0)
	s_barrier
	ds_write2_b32 v3, v33, v16 offset1:17
	ds_write_b32 v3, v12 offset:136
	ds_write2_b32 v18, v37, v15 offset1:17
	ds_write_b32 v18, v17 offset:136
	;; [unrolled: 2-line block ×5, first 2 shown]
	v_mul_lo_u16_sdwa v3, v0, s0 dst_sel:DWORD dst_unused:UNUSED_PAD src0_sel:BYTE_0 src1_sel:DWORD
	v_lshrrev_b16_e32 v14, 13, v3
	v_mul_lo_u16_e32 v3, 51, v14
	v_sub_u16_e32 v3, v0, v3
	v_mov_b32_e32 v12, 5
	v_lshlrev_b32_sdwa v13, v12, v3 dst_sel:DWORD dst_unused:UNUSED_PAD src0_sel:DWORD src1_sel:BYTE_0
	s_waitcnt lgkmcnt(0)
	s_barrier
	global_load_dwordx4 v[24:27], v13, s[8:9] offset:272
	global_load_dwordx4 v[30:33], v13, s[8:9] offset:288
	v_mul_lo_u16_sdwa v13, v60, s0 dst_sel:DWORD dst_unused:UNUSED_PAD src0_sel:BYTE_0 src1_sel:DWORD
	v_lshrrev_b16_e32 v20, 13, v13
	v_mul_lo_u16_e32 v13, 51, v20
	v_sub_u16_e32 v28, v60, v13
	v_lshlrev_b32_sdwa v12, v12, v28 dst_sel:DWORD dst_unused:UNUSED_PAD src0_sel:DWORD src1_sel:BYTE_0
	s_mov_b32 s0, 0xa0a1
	global_load_dwordx4 v[36:39], v12, s[8:9] offset:272
	global_load_dwordx4 v[62:65], v12, s[8:9] offset:288
	v_mul_u32_u24_sdwa v12, v59, s0 dst_sel:DWORD dst_unused:UNUSED_PAD src0_sel:WORD_0 src1_sel:DWORD
	v_lshrrev_b32_e32 v86, 21, v12
	v_mul_lo_u16_e32 v12, 51, v86
	v_sub_u16_e32 v87, v59, v12
	v_lshlrev_b32_e32 v12, 5, v87
	global_load_dwordx4 v[66:69], v12, s[8:9] offset:272
	global_load_dwordx4 v[70:73], v12, s[8:9] offset:288
	ds_read2_b32 v[15:16], v61 offset1:119
	ds_read2_b32 v[12:13], v19 offset0:110 offset1:229
	ds_read2_b32 v[17:18], v21 offset0:74 offset1:193
	ds_read2_b32 v[42:43], v23 offset0:56 offset1:175
	ds_read2_b32 v[80:81], v29 offset0:20 offset1:139
	ds_read2_b32 v[82:83], v9 offset0:92 offset1:211
	ds_read2_b32 v[84:85], v6 offset0:38 offset1:157
	ds_read_b32 v88, v61 offset:6664
	v_lshlrev_b32_sdwa v89, v56, v3 dst_sel:DWORD dst_unused:UNUSED_PAD src0_sel:DWORD src1_sel:BYTE_0
	v_mul_u32_u24_e32 v14, 0x3fc, v14
	s_waitcnt vmcnt(0) lgkmcnt(0)
	s_barrier
	v_cmp_gt_u32_e64 s[0:1], 17, v0
	v_mul_f32_e32 v52, v13, v25
	v_mul_f32_e32 v3, v46, v25
	v_fmac_f32_e32 v52, v46, v24
	v_fma_f32 v46, v13, v24, -v3
	v_mul_f32_e32 v3, v34, v27
	v_fma_f32 v48, v17, v26, -v3
	v_mul_f32_e32 v3, v75, v31
	v_fma_f32 v49, v43, v30, -v3
	v_mul_f32_e32 v3, v40, v33
	v_fma_f32 v51, v80, v32, -v3
	v_mul_f32_e32 v3, v76, v37
	v_mul_f32_e32 v54, v43, v31
	v_mul_f32_e32 v43, v82, v37
	v_fma_f32 v37, v82, v36, -v3
	v_mul_f32_e32 v44, v18, v39
	v_mul_f32_e32 v3, v35, v39
	;; [unrolled: 1-line block ×3, first 2 shown]
	v_fmac_f32_e32 v44, v35, v38
	v_fma_f32 v38, v18, v38, -v3
	v_mul_f32_e32 v3, v78, v63
	v_fmac_f32_e32 v55, v40, v32
	v_fma_f32 v40, v84, v62, -v3
	v_mul_f32_e32 v50, v81, v65
	v_mul_f32_e32 v3, v41, v65
	v_fmac_f32_e32 v50, v41, v64
	v_fma_f32 v41, v81, v64, -v3
	v_mul_f32_e32 v3, v77, v67
	v_fma_f32 v31, v83, v66, -v3
	v_mul_f32_e32 v3, v74, v69
	;; [unrolled: 2-line block ×3, first 2 shown]
	v_mul_f32_e32 v53, v17, v27
	v_fma_f32 v33, v85, v70, -v3
	v_mul_f32_e32 v3, v22, v73
	v_fmac_f32_e32 v53, v34, v26
	v_fma_f32 v34, v88, v72, -v3
	v_add_f32_e32 v3, v57, v52
	v_fmac_f32_e32 v54, v75, v30
	v_add_f32_e32 v3, v3, v53
	v_add_f32_e32 v3, v3, v54
	v_fmac_f32_e32 v43, v76, v36
	v_mul_f32_e32 v36, v42, v69
	v_mul_f32_e32 v42, v88, v73
	v_add_f32_e32 v18, v3, v55
	v_add_f32_e32 v3, v53, v54
	v_fmac_f32_e32 v42, v22, v72
	v_fma_f32 v22, -0.5, v3, v57
	v_sub_f32_e32 v3, v46, v51
	v_mov_b32_e32 v24, v22
	v_fmac_f32_e32 v24, 0xbf737871, v3
	v_sub_f32_e32 v25, v48, v49
	v_sub_f32_e32 v26, v52, v53
	;; [unrolled: 1-line block ×3, first 2 shown]
	v_fmac_f32_e32 v22, 0x3f737871, v3
	v_fmac_f32_e32 v24, 0xbf167918, v25
	v_add_f32_e32 v26, v26, v27
	v_fmac_f32_e32 v22, 0x3f167918, v25
	v_fmac_f32_e32 v24, 0x3e9e377a, v26
	;; [unrolled: 1-line block ×3, first 2 shown]
	v_add_f32_e32 v26, v52, v55
	v_fma_f32 v26, -0.5, v26, v57
	v_mov_b32_e32 v27, v26
	v_fmac_f32_e32 v27, 0x3f737871, v25
	v_fmac_f32_e32 v26, 0xbf737871, v25
	v_mul_f32_e32 v47, v84, v63
	v_fmac_f32_e32 v27, 0xbf167918, v3
	v_fmac_f32_e32 v26, 0x3f167918, v3
	v_add_f32_e32 v3, v58, v43
	v_fmac_f32_e32 v47, v78, v62
	v_add_f32_e32 v3, v3, v44
	v_lshlrev_b32_sdwa v13, v56, v28 dst_sel:DWORD dst_unused:UNUSED_PAD src0_sel:DWORD src1_sel:BYTE_0
	v_sub_f32_e32 v28, v53, v52
	v_sub_f32_e32 v30, v54, v55
	v_add_f32_e32 v3, v3, v47
	v_add_f32_e32 v28, v28, v30
	;; [unrolled: 1-line block ×4, first 2 shown]
	v_fmac_f32_e32 v27, 0x3e9e377a, v28
	v_fmac_f32_e32 v26, 0x3e9e377a, v28
	v_fma_f32 v28, -0.5, v3, v58
	v_sub_f32_e32 v3, v37, v41
	v_mov_b32_e32 v30, v28
	v_fmac_f32_e32 v30, 0xbf737871, v3
	v_sub_f32_e32 v56, v38, v40
	v_sub_f32_e32 v57, v43, v44
	;; [unrolled: 1-line block ×3, first 2 shown]
	v_fmac_f32_e32 v28, 0x3f737871, v3
	v_fmac_f32_e32 v30, 0xbf167918, v56
	v_add_f32_e32 v57, v57, v62
	v_fmac_f32_e32 v28, 0x3f167918, v56
	v_fmac_f32_e32 v30, 0x3e9e377a, v57
	;; [unrolled: 1-line block ×3, first 2 shown]
	v_add_f32_e32 v57, v43, v50
	v_fmac_f32_e32 v58, -0.5, v57
	v_mul_f32_e32 v35, v83, v67
	v_mov_b32_e32 v62, v58
	v_fmac_f32_e32 v35, v77, v66
	v_fmac_f32_e32 v62, 0x3f737871, v56
	;; [unrolled: 1-line block ×4, first 2 shown]
	v_mul_f32_e32 v39, v85, v71
	v_fmac_f32_e32 v62, 0xbf167918, v3
	v_fmac_f32_e32 v58, 0x3f167918, v3
	v_add_f32_e32 v3, v45, v35
	v_fmac_f32_e32 v39, v79, v70
	v_add_f32_e32 v3, v3, v36
	v_sub_f32_e32 v57, v44, v43
	v_sub_f32_e32 v63, v47, v50
	v_add_f32_e32 v3, v3, v39
	v_add_f32_e32 v57, v57, v63
	;; [unrolled: 1-line block ×4, first 2 shown]
	v_fma_f32 v3, -0.5, v3, v45
	v_sub_f32_e32 v56, v31, v34
	v_mov_b32_e32 v64, v3
	v_fmac_f32_e32 v62, 0x3e9e377a, v57
	v_fmac_f32_e32 v58, 0x3e9e377a, v57
	v_fmac_f32_e32 v64, 0xbf737871, v56
	v_sub_f32_e32 v57, v32, v33
	v_sub_f32_e32 v65, v35, v36
	;; [unrolled: 1-line block ×3, first 2 shown]
	v_fmac_f32_e32 v3, 0x3f737871, v56
	v_fmac_f32_e32 v64, 0xbf167918, v57
	v_add_f32_e32 v65, v65, v66
	v_fmac_f32_e32 v3, 0x3f167918, v57
	v_fmac_f32_e32 v64, 0x3e9e377a, v65
	;; [unrolled: 1-line block ×3, first 2 shown]
	v_add_f32_e32 v65, v35, v42
	v_fmac_f32_e32 v45, -0.5, v65
	v_mov_b32_e32 v65, v45
	v_fmac_f32_e32 v65, 0x3f737871, v57
	v_fmac_f32_e32 v45, 0xbf737871, v57
	;; [unrolled: 1-line block ×4, first 2 shown]
	v_add3_u32 v56, 0, v14, v89
	v_mul_u32_u24_e32 v14, 0x3fc, v20
	v_lshlrev_b32_e32 v17, 2, v87
	v_sub_f32_e32 v66, v36, v35
	v_sub_f32_e32 v67, v39, v42
	v_add3_u32 v57, 0, v14, v13
	v_mul_u32_u24_e32 v13, 0x3fc, v86
	v_add_f32_e32 v66, v66, v67
	ds_write2_b32 v56, v18, v24 offset1:51
	ds_write2_b32 v56, v27, v26 offset0:102 offset1:153
	ds_write_b32 v56, v22 offset:816
	ds_write2_b32 v57, v25, v30 offset1:51
	ds_write2_b32 v57, v62, v58 offset0:102 offset1:153
	ds_write_b32 v57, v28 offset:816
	v_add3_u32 v58, 0, v13, v17
	v_fmac_f32_e32 v65, 0x3e9e377a, v66
	v_fmac_f32_e32 v45, 0x3e9e377a, v66
	ds_write2_b32 v58, v63, v64 offset1:51
	ds_write2_b32 v58, v65, v45 offset0:102 offset1:153
	ds_write_b32 v58, v3 offset:816
	s_waitcnt lgkmcnt(0)
	s_barrier
	ds_read2_b32 v[17:18], v61 offset1:119
	ds_read2_b32 v[27:28], v19 offset0:127 offset1:246
	ds_read2_b32 v[19:20], v9 offset0:126 offset1:245
	;; [unrolled: 1-line block ×6, first 2 shown]
                                        ; implicit-def: $vgpr13
                                        ; implicit-def: $vgpr45
	s_and_saveexec_b64 s[4:5], s[0:1]
	s_cbranch_execz .LBB0_17
; %bb.16:
	v_add_u32_e32 v3, 0x3b8, v61
	v_add_u32_e32 v5, 0xbb0, v61
	;; [unrolled: 1-line block ×3, first 2 shown]
	ds_read2_b32 v[3:4], v3 offset1:255
	ds_read2_b32 v[5:6], v5 offset1:255
	;; [unrolled: 1-line block ×3, first 2 shown]
	ds_read_b32 v45, v61 offset:7072
.LBB0_17:
	s_or_b64 exec, exec, s[4:5]
	v_add_f32_e32 v9, v15, v46
	v_add_f32_e32 v9, v9, v48
	;; [unrolled: 1-line block ×5, first 2 shown]
	v_fma_f32 v63, -0.5, v9, v15
	v_sub_f32_e32 v9, v52, v55
	v_mov_b32_e32 v52, v63
	v_fmac_f32_e32 v52, 0x3f737871, v9
	v_sub_f32_e32 v53, v53, v54
	v_sub_f32_e32 v54, v46, v48
	;; [unrolled: 1-line block ×3, first 2 shown]
	v_fmac_f32_e32 v63, 0xbf737871, v9
	v_fmac_f32_e32 v52, 0x3f167918, v53
	v_add_f32_e32 v54, v54, v55
	v_fmac_f32_e32 v63, 0xbf167918, v53
	v_fmac_f32_e32 v52, 0x3e9e377a, v54
	;; [unrolled: 1-line block ×3, first 2 shown]
	v_add_f32_e32 v54, v46, v51
	v_fma_f32 v15, -0.5, v54, v15
	v_mov_b32_e32 v54, v15
	v_fmac_f32_e32 v54, 0xbf737871, v53
	v_fmac_f32_e32 v15, 0x3f737871, v53
	;; [unrolled: 1-line block ×4, first 2 shown]
	v_add_f32_e32 v9, v16, v37
	v_sub_f32_e32 v46, v48, v46
	v_sub_f32_e32 v48, v49, v51
	v_add_f32_e32 v9, v9, v38
	v_add_f32_e32 v46, v46, v48
	;; [unrolled: 1-line block ×3, first 2 shown]
	v_fmac_f32_e32 v54, 0x3e9e377a, v46
	v_fmac_f32_e32 v15, 0x3e9e377a, v46
	v_add_f32_e32 v46, v9, v41
	v_add_f32_e32 v9, v38, v40
	v_fma_f32 v48, -0.5, v9, v16
	v_sub_f32_e32 v9, v43, v50
	v_mov_b32_e32 v43, v48
	v_fmac_f32_e32 v43, 0x3f737871, v9
	v_sub_f32_e32 v44, v44, v47
	v_sub_f32_e32 v47, v37, v38
	;; [unrolled: 1-line block ×3, first 2 shown]
	v_fmac_f32_e32 v48, 0xbf737871, v9
	v_fmac_f32_e32 v43, 0x3f167918, v44
	v_add_f32_e32 v47, v47, v49
	v_fmac_f32_e32 v48, 0xbf167918, v44
	v_fmac_f32_e32 v43, 0x3e9e377a, v47
	;; [unrolled: 1-line block ×3, first 2 shown]
	v_add_f32_e32 v47, v37, v41
	v_fmac_f32_e32 v16, -0.5, v47
	v_mov_b32_e32 v47, v16
	v_fmac_f32_e32 v47, 0xbf737871, v44
	v_fmac_f32_e32 v16, 0x3f737871, v44
	;; [unrolled: 1-line block ×4, first 2 shown]
	v_add_f32_e32 v9, v12, v31
	v_sub_f32_e32 v37, v38, v37
	v_sub_f32_e32 v38, v40, v41
	v_add_f32_e32 v9, v9, v32
	v_add_f32_e32 v37, v37, v38
	;; [unrolled: 1-line block ×3, first 2 shown]
	v_fmac_f32_e32 v47, 0x3e9e377a, v37
	v_fmac_f32_e32 v16, 0x3e9e377a, v37
	v_add_f32_e32 v37, v9, v34
	v_add_f32_e32 v9, v32, v33
	v_fma_f32 v9, -0.5, v9, v12
	v_sub_f32_e32 v35, v35, v42
	v_mov_b32_e32 v38, v9
	v_fmac_f32_e32 v38, 0x3f737871, v35
	v_sub_f32_e32 v36, v36, v39
	v_sub_f32_e32 v39, v31, v32
	;; [unrolled: 1-line block ×3, first 2 shown]
	v_fmac_f32_e32 v9, 0xbf737871, v35
	v_fmac_f32_e32 v38, 0x3f167918, v36
	v_add_f32_e32 v39, v39, v40
	v_fmac_f32_e32 v9, 0xbf167918, v36
	v_fmac_f32_e32 v38, 0x3e9e377a, v39
	;; [unrolled: 1-line block ×3, first 2 shown]
	v_add_f32_e32 v39, v31, v34
	v_fmac_f32_e32 v12, -0.5, v39
	v_mov_b32_e32 v39, v12
	v_sub_f32_e32 v31, v32, v31
	v_sub_f32_e32 v32, v33, v34
	v_fmac_f32_e32 v12, 0x3f737871, v36
	v_fmac_f32_e32 v39, 0xbf737871, v36
	v_add_f32_e32 v31, v31, v32
	v_fmac_f32_e32 v12, 0xbf167918, v35
	v_fmac_f32_e32 v39, 0x3f167918, v35
	v_fmac_f32_e32 v12, 0x3e9e377a, v31
	v_fmac_f32_e32 v39, 0x3e9e377a, v31
	s_waitcnt lgkmcnt(0)
	s_barrier
	ds_write2_b32 v56, v62, v52 offset1:51
	ds_write2_b32 v56, v54, v15 offset0:102 offset1:153
	ds_write_b32 v56, v63 offset:816
	ds_write2_b32 v57, v46, v43 offset1:51
	ds_write2_b32 v57, v47, v16 offset0:102 offset1:153
	ds_write_b32 v57, v48 offset:816
	;; [unrolled: 3-line block ×3, first 2 shown]
	v_add_u32_e32 v12, 0x200, v61
	s_waitcnt lgkmcnt(0)
	s_barrier
	ds_read2_b32 v[37:38], v12 offset0:127 offset1:246
	v_add_u32_e32 v12, 0x600, v61
	ds_read2_b32 v[33:34], v12 offset0:126 offset1:245
	v_add_u32_e32 v12, 0xa00, v61
	;; [unrolled: 2-line block ×5, first 2 shown]
	ds_read2_b32 v[31:32], v61 offset1:119
	ds_read2_b32 v[43:44], v12 offset0:122 offset1:241
                                        ; implicit-def: $vgpr15
                                        ; implicit-def: $vgpr46
	s_and_saveexec_b64 s[4:5], s[0:1]
	s_cbranch_execz .LBB0_19
; %bb.18:
	v_add_u32_e32 v9, 0x3b8, v61
	v_add_u32_e32 v11, 0xbb0, v61
	;; [unrolled: 1-line block ×3, first 2 shown]
	ds_read2_b32 v[9:10], v9 offset1:255
	ds_read2_b32 v[11:12], v11 offset1:255
	;; [unrolled: 1-line block ×3, first 2 shown]
	ds_read_b32 v46, v61 offset:7072
.LBB0_19:
	s_or_b64 exec, exec, s[4:5]
	s_and_saveexec_b64 s[4:5], vcc
	s_cbranch_execz .LBB0_22
; %bb.20:
	v_mul_u32_u24_e32 v47, 6, v60
	v_lshlrev_b32_e32 v61, 3, v47
	global_load_dwordx4 v[47:50], v61, s[8:9] offset:1904
	global_load_dwordx4 v[51:54], v61, s[8:9] offset:1936
	;; [unrolled: 1-line block ×3, first 2 shown]
	v_mul_u32_u24_e32 v61, 6, v0
	v_lshlrev_b32_e32 v75, 3, v61
	global_load_dwordx4 v[61:64], v75, s[8:9] offset:1904
	global_load_dwordx4 v[65:68], v75, s[8:9] offset:1936
	;; [unrolled: 1-line block ×3, first 2 shown]
	v_mul_lo_u32 v73, s3, v7
	v_mul_lo_u32 v74, s2, v8
	v_mad_u64_u32 v[7:8], s[2:3], s2, v7, 0
	s_mov_b32 s3, 0xbf5ff5aa
	s_mov_b32 s2, 0x3eae86e6
	v_add3_u32 v8, v8, v74, v73
	s_mov_b32 s4, 0xbf3bfb3b
	s_mov_b32 s5, 0x3f3bfb3b
	v_lshlrev_b64 v[7:8], 3, v[7:8]
	v_lshlrev_b64 v[1:2], 3, v[1:2]
	s_movk_i32 s10, 0x5fa
	s_waitcnt vmcnt(5)
	v_mul_f32_e32 v73, v28, v47
	s_waitcnt vmcnt(4)
	v_mul_f32_e32 v74, v30, v53
	;; [unrolled: 2-line block ×3, first 2 shown]
	v_mul_f32_e32 v76, v26, v55
	v_mul_f32_e32 v77, v20, v49
	;; [unrolled: 1-line block ×9, first 2 shown]
	s_waitcnt lgkmcnt(6)
	v_fmac_f32_e32 v73, v38, v48
	s_waitcnt lgkmcnt(0)
	v_fmac_f32_e32 v74, v44, v54
	v_fmac_f32_e32 v75, v42, v58
	;; [unrolled: 1-line block ×5, first 2 shown]
	v_fma_f32 v30, v44, v53, -v30
	v_fma_f32 v28, v38, v47, -v28
	;; [unrolled: 1-line block ×6, first 2 shown]
	v_sub_f32_e32 v36, v75, v76
	v_sub_f32_e32 v38, v77, v78
	v_add_f32_e32 v40, v28, v30
	v_add_f32_e32 v42, v24, v26
	;; [unrolled: 1-line block ×5, first 2 shown]
	v_sub_f32_e32 v24, v24, v26
	v_sub_f32_e32 v20, v20, v22
	;; [unrolled: 1-line block ×3, first 2 shown]
	v_add_f32_e32 v47, v75, v76
	v_sub_f32_e32 v28, v28, v30
	v_sub_f32_e32 v26, v36, v38
	v_add_f32_e32 v30, v36, v38
	v_sub_f32_e32 v48, v42, v44
	v_add_f32_e32 v49, v40, v44
	v_add_f32_e32 v54, v51, v53
	v_sub_f32_e32 v56, v24, v20
	v_sub_f32_e32 v22, v34, v36
	;; [unrolled: 1-line block ×5, first 2 shown]
	v_add_f32_e32 v24, v24, v20
	v_mul_f32_e32 v26, 0x3f08b237, v26
	v_add_f32_e32 v30, v34, v30
	v_mul_f32_e32 v58, 0x3d64c772, v48
	v_add_f32_e32 v42, v42, v49
	v_add_f32_e32 v49, v47, v54
	v_mul_f32_e32 v56, 0x3f08b237, v56
	v_sub_f32_e32 v34, v38, v34
	v_sub_f32_e32 v20, v20, v28
	;; [unrolled: 1-line block ×3, first 2 shown]
	v_mul_f32_e32 v74, 0x3d64c772, v52
	v_add_f32_e32 v24, v28, v24
	v_mov_b32_e32 v75, v26
	v_mov_b32_e32 v52, v58
	v_add_f32_e32 v48, v32, v42
	v_add_f32_e32 v47, v18, v49
	v_mov_b32_e32 v18, v56
	v_mul_f32_e32 v38, 0xbf5ff5aa, v34
	v_mul_f32_e32 v28, 0xbf5ff5aa, v20
	;; [unrolled: 1-line block ×4, first 2 shown]
	v_fmac_f32_e32 v75, 0xbeae86e6, v22
	v_fmac_f32_e32 v52, 0x3f4a47b2, v36
	v_mov_b32_e32 v36, v48
	v_mov_b32_e32 v76, v47
	v_fmac_f32_e32 v18, 0xbeae86e6, v55
	v_fma_f32 v22, v22, s2, -v38
	v_sub_f32_e32 v38, v44, v40
	v_sub_f32_e32 v44, v53, v51
	v_fma_f32 v28, v55, s2, -v28
	v_fma_f32 v20, v20, s3, -v56
	v_fmac_f32_e32 v36, 0xbf955555, v42
	v_fmac_f32_e32 v76, 0xbf955555, v49
	;; [unrolled: 1-line block ×3, first 2 shown]
	v_fma_f32 v40, v38, s4, -v57
	v_fma_f32 v51, v44, s4, -v73
	v_fmac_f32_e32 v28, 0xbee1c552, v24
	v_fma_f32 v38, v38, s5, -v58
	v_fma_f32 v26, v34, s3, -v26
	v_fmac_f32_e32 v20, 0xbee1c552, v24
	v_fma_f32 v24, v44, s5, -v74
	v_mov_b32_e32 v32, v74
	v_add_f32_e32 v42, v52, v36
	v_fmac_f32_e32 v22, 0xbee1c552, v30
	v_add_f32_e32 v40, v40, v36
	v_add_f32_e32 v57, v51, v76
	;; [unrolled: 1-line block ×3, first 2 shown]
	v_fmac_f32_e32 v26, 0xbee1c552, v30
	v_add_f32_e32 v24, v24, v76
	v_fmac_f32_e32 v32, 0x3f4a47b2, v50
	v_fmac_f32_e32 v75, 0xbee1c552, v30
	v_add_f32_e32 v52, v22, v40
	v_sub_f32_e32 v51, v57, v28
	v_sub_f32_e32 v54, v36, v26
	v_add_f32_e32 v53, v20, v24
	v_add_f32_e32 v56, v26, v36
	v_sub_f32_e32 v55, v24, v20
	v_sub_f32_e32 v58, v40, v22
	v_add_f32_e32 v57, v28, v57
	s_waitcnt vmcnt(2)
	v_mul_f32_e32 v22, v27, v61
	s_waitcnt vmcnt(1)
	v_mul_f32_e32 v24, v29, v67
	;; [unrolled: 2-line block ×3, first 2 shown]
	v_mul_f32_e32 v30, v25, v69
	v_mul_f32_e32 v34, v19, v63
	;; [unrolled: 1-line block ×3, first 2 shown]
	v_add_f32_e32 v32, v32, v76
	v_fmac_f32_e32 v22, v37, v62
	v_fmac_f32_e32 v24, v43, v68
	;; [unrolled: 1-line block ×6, first 2 shown]
	v_sub_f32_e32 v49, v32, v18
	v_add_f32_e32 v73, v18, v32
	v_sub_f32_e32 v26, v22, v24
	v_sub_f32_e32 v18, v28, v30
	;; [unrolled: 1-line block ×5, first 2 shown]
	v_add_f32_e32 v18, v18, v38
	v_add_f32_e32 v44, v26, v18
	v_mul_f32_e32 v18, v29, v68
	v_add_f32_e32 v24, v22, v24
	v_add_f32_e32 v22, v28, v30
	;; [unrolled: 1-line block ×3, first 2 shown]
	v_fma_f32 v29, v43, v67, -v18
	v_mul_f32_e32 v18, v27, v62
	v_sub_f32_e32 v36, v22, v34
	v_fma_f32 v27, v37, v61, -v18
	v_mul_f32_e32 v18, v25, v70
	v_mul_f32_e32 v36, 0x3d64c772, v36
	v_fma_f32 v25, v39, v69, -v18
	v_mul_f32_e32 v18, v23, v72
	v_mul_f32_e32 v21, v21, v66
	;; [unrolled: 1-line block ×3, first 2 shown]
	v_sub_f32_e32 v28, v24, v22
	v_mov_b32_e32 v43, v36
	v_fma_f32 v23, v41, v71, -v18
	v_fma_f32 v21, v35, v65, -v21
	;; [unrolled: 1-line block ×3, first 2 shown]
	v_mul_f32_e32 v30, 0x3f4a47b2, v28
	v_fmac_f32_e32 v43, 0x3f4a47b2, v28
	v_add_f32_e32 v28, v24, v34
	v_add_f32_e32 v18, v23, v25
	v_add_f32_e32 v33, v19, v21
	v_add_f32_e32 v22, v22, v28
	v_sub_f32_e32 v35, v18, v33
	v_add_f32_e32 v17, v17, v22
	v_add_f32_e32 v37, v27, v29
	v_mul_f32_e32 v35, 0x3d64c772, v35
	v_mov_b32_e32 v28, v17
	v_mul_f32_e32 v40, 0x3f08b237, v20
	v_sub_f32_e32 v20, v37, v18
	v_mov_b32_e32 v41, v35
	v_fmac_f32_e32 v28, 0xbf955555, v22
	v_sub_f32_e32 v22, v23, v25
	v_sub_f32_e32 v21, v19, v21
	v_mul_f32_e32 v39, 0x3f4a47b2, v20
	v_fmac_f32_e32 v41, 0x3f4a47b2, v20
	v_add_f32_e32 v20, v37, v33
	v_sub_f32_e32 v19, v22, v21
	v_add_f32_e32 v20, v18, v20
	v_sub_f32_e32 v27, v27, v29
	v_mul_f32_e32 v25, 0x3f08b237, v19
	v_add_f32_e32 v19, v22, v21
	v_add_f32_e32 v18, v31, v20
	v_sub_f32_e32 v23, v27, v22
	v_add_f32_e32 v29, v27, v19
	v_sub_f32_e32 v26, v38, v26
	v_sub_f32_e32 v27, v21, v27
	v_add_f32_e32 v50, v75, v42
	v_sub_f32_e32 v74, v42, v75
	v_mov_b32_e32 v42, v40
	v_mov_b32_e32 v31, v18
	;; [unrolled: 1-line block ×3, first 2 shown]
	v_mul_f32_e32 v22, 0xbf5ff5aa, v26
	v_sub_f32_e32 v33, v33, v37
	v_mul_f32_e32 v21, 0xbf5ff5aa, v27
	v_fmac_f32_e32 v42, 0xbeae86e6, v32
	v_fmac_f32_e32 v31, 0xbf955555, v20
	;; [unrolled: 1-line block ×3, first 2 shown]
	v_fma_f32 v32, v32, s2, -v22
	v_fma_f32 v22, v33, s4, -v39
	v_sub_f32_e32 v34, v34, v24
	v_fma_f32 v39, v23, s2, -v21
	v_fma_f32 v23, v33, s5, -v35
	v_add_f32_e32 v41, v41, v31
	v_add_f32_e32 v37, v22, v31
	v_fma_f32 v24, v34, s4, -v30
	v_add_f32_e32 v30, v23, v31
	v_fma_f32 v31, v26, s3, -v40
	v_fma_f32 v27, v27, s3, -v25
	v_mad_u64_u32 v[25:26], s[6:7], s20, v0, 0
	v_fma_f32 v23, v34, s5, -v36
	v_fmac_f32_e32 v61, 0xbee1c552, v29
	v_fmac_f32_e32 v39, 0xbee1c552, v29
	;; [unrolled: 1-line block ×3, first 2 shown]
	v_add_f32_e32 v29, v23, v28
	v_fmac_f32_e32 v32, 0xbee1c552, v44
	v_fmac_f32_e32 v31, 0xbee1c552, v44
	v_add_f32_e32 v23, v27, v29
	v_sub_f32_e32 v27, v29, v27
	v_add_f32_e32 v43, v43, v28
	v_add_f32_e32 v22, v32, v37
	;; [unrolled: 1-line block ×3, first 2 shown]
	v_sub_f32_e32 v24, v30, v31
	v_add_f32_e32 v28, v31, v30
	v_sub_f32_e32 v30, v37, v32
	v_mad_u64_u32 v[31:32], s[6:7], s21, v0, v[26:27]
	v_add_co_u32_e32 v34, vcc, s14, v7
	v_mov_b32_e32 v26, v31
	v_mov_b32_e32 v31, s15
	v_addc_co_u32_e32 v31, vcc, v31, v8, vcc
	v_add_co_u32_e32 v1, vcc, v34, v1
	v_lshlrev_b64 v[25:26], 3, v[25:26]
	v_add_u32_e32 v35, 0xff, v0
	v_addc_co_u32_e32 v2, vcc, v31, v2, vcc
	v_mad_u64_u32 v[7:8], s[6:7], s20, v35, 0
	v_add_co_u32_e32 v25, vcc, v1, v25
	v_addc_co_u32_e32 v26, vcc, v2, v26, vcc
	global_store_dwordx2 v[25:26], v[17:18], off
	v_add_u32_e32 v25, 0x1fe, v0
	v_mad_u64_u32 v[17:18], s[6:7], s20, v25, 0
	v_mad_u64_u32 v[34:35], s[6:7], s21, v35, v[8:9]
	v_sub_f32_e32 v19, v43, v61
	v_mad_u64_u32 v[25:26], s[6:7], s21, v25, v[18:19]
	v_mov_b32_e32 v8, v34
	v_add_u32_e32 v26, 0x2fd, v0
	v_lshlrev_b64 v[7:8], 3, v[7:8]
	v_mad_u64_u32 v[34:35], s[6:7], s20, v26, 0
	v_fmac_f32_e32 v42, 0xbee1c552, v44
	v_add_co_u32_e32 v7, vcc, v1, v7
	v_sub_f32_e32 v33, v41, v42
	v_add_f32_e32 v32, v61, v43
	v_addc_co_u32_e32 v8, vcc, v2, v8, vcc
	v_mov_b32_e32 v18, v25
	global_store_dwordx2 v[7:8], v[32:33], off
	v_lshlrev_b64 v[7:8], 3, v[17:18]
	v_mov_b32_e32 v17, v35
	v_mad_u64_u32 v[17:18], s[6:7], s21, v26, v[17:18]
	v_add_u32_e32 v25, 0x3fc, v0
	v_add_co_u32_e32 v7, vcc, v1, v7
	v_mov_b32_e32 v35, v17
	v_mad_u64_u32 v[17:18], s[6:7], s20, v25, 0
	v_add_f32_e32 v29, v39, v38
	v_addc_co_u32_e32 v8, vcc, v2, v8, vcc
	v_mad_u64_u32 v[25:26], s[6:7], s21, v25, v[18:19]
	v_add_u32_e32 v26, 0x4fb, v0
	global_store_dwordx2 v[7:8], v[29:30], off
	v_lshlrev_b64 v[7:8], 3, v[34:35]
	v_mad_u64_u32 v[29:30], s[6:7], s20, v26, 0
	v_add_co_u32_e32 v7, vcc, v1, v7
	v_addc_co_u32_e32 v8, vcc, v2, v8, vcc
	v_mov_b32_e32 v18, v25
	global_store_dwordx2 v[7:8], v[27:28], off
	v_lshlrev_b64 v[7:8], 3, v[17:18]
	v_mov_b32_e32 v17, v30
	v_mad_u64_u32 v[17:18], s[6:7], s21, v26, v[17:18]
	v_add_co_u32_e32 v7, vcc, v1, v7
	v_addc_co_u32_e32 v8, vcc, v2, v8, vcc
	global_store_dwordx2 v[7:8], v[23:24], off
	v_add_u32_e32 v23, 0x5fa, v0
	v_mov_b32_e32 v30, v17
	v_mad_u64_u32 v[17:18], s[6:7], s20, v23, 0
	s_mov_b32 s6, 0x80808081
	v_mul_hi_u32 v25, v60, s6
	v_mad_u64_u32 v[23:24], s[6:7], s21, v23, v[18:19]
	v_lshlrev_b64 v[7:8], 3, v[29:30]
	v_lshrrev_b32_e32 v18, 7, v25
	v_mad_u32_u24 v26, v18, s10, v60
	v_mad_u64_u32 v[24:25], s[6:7], s20, v26, 0
	v_add_co_u32_e32 v7, vcc, v1, v7
	v_sub_f32_e32 v21, v38, v39
	v_addc_co_u32_e32 v8, vcc, v2, v8, vcc
	v_mov_b32_e32 v18, v23
	global_store_dwordx2 v[7:8], v[21:22], off
	v_lshlrev_b64 v[7:8], 3, v[17:18]
	v_mov_b32_e32 v17, v25
	v_mad_u64_u32 v[17:18], s[6:7], s21, v26, v[17:18]
	v_add_co_u32_e32 v7, vcc, v1, v7
	v_add_f32_e32 v20, v42, v41
	v_addc_co_u32_e32 v8, vcc, v2, v8, vcc
	global_store_dwordx2 v[7:8], v[19:20], off
	v_add_u32_e32 v19, 0xff, v26
	v_mov_b32_e32 v25, v17
	v_mad_u64_u32 v[17:18], s[6:7], s20, v19, 0
	v_add_u32_e32 v21, 0x1fe, v26
	v_lshlrev_b64 v[7:8], 3, v[24:25]
	v_mad_u64_u32 v[18:19], s[6:7], s21, v19, v[18:19]
	v_mad_u64_u32 v[19:20], s[6:7], s20, v21, 0
	v_add_co_u32_e32 v7, vcc, v1, v7
	v_addc_co_u32_e32 v8, vcc, v2, v8, vcc
	global_store_dwordx2 v[7:8], v[47:48], off
	v_lshlrev_b64 v[7:8], 3, v[17:18]
	v_mov_b32_e32 v17, v20
	v_mad_u64_u32 v[17:18], s[6:7], s21, v21, v[17:18]
	v_add_co_u32_e32 v7, vcc, v1, v7
	v_addc_co_u32_e32 v8, vcc, v2, v8, vcc
	v_mov_b32_e32 v20, v17
	global_store_dwordx2 v[7:8], v[73:74], off
	v_lshlrev_b64 v[7:8], 3, v[19:20]
	v_add_u32_e32 v19, 0x2fd, v26
	v_mad_u64_u32 v[17:18], s[6:7], s20, v19, 0
	v_add_u32_e32 v21, 0x3fc, v26
	v_add_co_u32_e32 v7, vcc, v1, v7
	v_mad_u64_u32 v[18:19], s[6:7], s21, v19, v[18:19]
	v_mad_u64_u32 v[19:20], s[6:7], s20, v21, 0
	v_addc_co_u32_e32 v8, vcc, v2, v8, vcc
	global_store_dwordx2 v[7:8], v[57:58], off
	v_lshlrev_b64 v[7:8], 3, v[17:18]
	v_mov_b32_e32 v17, v20
	v_mad_u64_u32 v[17:18], s[6:7], s21, v21, v[17:18]
	v_add_co_u32_e32 v7, vcc, v1, v7
	v_addc_co_u32_e32 v8, vcc, v2, v8, vcc
	v_mov_b32_e32 v20, v17
	global_store_dwordx2 v[7:8], v[55:56], off
	v_lshlrev_b64 v[7:8], 3, v[19:20]
	v_add_u32_e32 v19, 0x4fb, v26
	v_mad_u64_u32 v[17:18], s[6:7], s20, v19, 0
	v_add_u32_e32 v21, 0x5fa, v26
	v_add_co_u32_e32 v7, vcc, v1, v7
	v_mad_u64_u32 v[18:19], s[6:7], s21, v19, v[18:19]
	v_mad_u64_u32 v[19:20], s[6:7], s20, v21, 0
	v_addc_co_u32_e32 v8, vcc, v2, v8, vcc
	global_store_dwordx2 v[7:8], v[53:54], off
	v_lshlrev_b64 v[7:8], 3, v[17:18]
	v_mov_b32_e32 v17, v20
	v_mad_u64_u32 v[17:18], s[6:7], s21, v21, v[17:18]
	v_add_co_u32_e32 v7, vcc, v1, v7
	v_addc_co_u32_e32 v8, vcc, v2, v8, vcc
	v_mov_b32_e32 v20, v17
	global_store_dwordx2 v[7:8], v[51:52], off
	v_lshlrev_b64 v[7:8], 3, v[19:20]
	v_add_co_u32_e32 v7, vcc, v1, v7
	v_addc_co_u32_e32 v8, vcc, v2, v8, vcc
	global_store_dwordx2 v[7:8], v[49:50], off
	s_and_b64 exec, exec, s[0:1]
	s_cbranch_execz .LBB0_22
; %bb.21:
	v_subrev_u32_e32 v7, 17, v0
	v_cndmask_b32_e64 v7, v7, v59, s[0:1]
	v_mul_i32_i24_e32 v7, 6, v7
	v_mov_b32_e32 v8, 0
	v_lshlrev_b64 v[7:8], 3, v[7:8]
	v_mov_b32_e32 v17, s9
	v_add_co_u32_e32 v7, vcc, s8, v7
	v_addc_co_u32_e32 v8, vcc, v17, v8, vcc
	global_load_dwordx4 v[17:20], v[7:8], off offset:1904
	global_load_dwordx4 v[21:24], v[7:8], off offset:1920
	;; [unrolled: 1-line block ×3, first 2 shown]
	s_waitcnt vmcnt(2)
	v_mul_f32_e32 v7, v10, v18
	v_mul_f32_e32 v8, v4, v18
	;; [unrolled: 1-line block ×4, first 2 shown]
	s_waitcnt vmcnt(0)
	v_mul_f32_e32 v31, v16, v26
	v_mul_f32_e32 v26, v14, v26
	;; [unrolled: 1-line block ×8, first 2 shown]
	v_fmac_f32_e32 v7, v4, v17
	v_fma_f32 v4, v10, v17, -v8
	v_fmac_f32_e32 v18, v5, v19
	v_fma_f32 v5, v11, v19, -v20
	;; [unrolled: 2-line block ×6, first 2 shown]
	v_add_f32_e32 v12, v7, v32
	v_add_f32_e32 v13, v4, v11
	v_sub_f32_e32 v4, v4, v11
	v_add_f32_e32 v11, v18, v31
	v_add_f32_e32 v14, v5, v10
	v_sub_f32_e32 v7, v7, v32
	v_sub_f32_e32 v15, v18, v31
	;; [unrolled: 1-line block ×3, first 2 shown]
	v_add_f32_e32 v10, v29, v30
	v_add_f32_e32 v16, v6, v8
	v_sub_f32_e32 v17, v30, v29
	v_sub_f32_e32 v6, v8, v6
	v_add_f32_e32 v8, v11, v12
	v_add_f32_e32 v18, v14, v13
	v_sub_f32_e32 v19, v11, v12
	v_sub_f32_e32 v20, v14, v13
	;; [unrolled: 1-line block ×6, first 2 shown]
	v_add_f32_e32 v21, v17, v15
	v_add_f32_e32 v22, v6, v5
	v_sub_f32_e32 v23, v17, v15
	v_sub_f32_e32 v24, v6, v5
	;; [unrolled: 1-line block ×3, first 2 shown]
	v_add_f32_e32 v8, v10, v8
	v_add_f32_e32 v10, v16, v18
	v_sub_f32_e32 v17, v7, v17
	v_sub_f32_e32 v6, v4, v6
	v_sub_f32_e32 v5, v5, v4
	v_add_f32_e32 v7, v21, v7
	v_add_f32_e32 v16, v22, v4
	v_mul_f32_e32 v12, 0x3f4a47b2, v12
	v_mul_f32_e32 v13, 0x3f4a47b2, v13
	;; [unrolled: 1-line block ×7, first 2 shown]
	v_add_f32_e32 v3, v3, v8
	v_add_f32_e32 v4, v9, v10
	v_mul_f32_e32 v25, 0xbf5ff5aa, v5
	v_fma_f32 v9, v19, s5, -v18
	v_fma_f32 v18, v20, s5, -v21
	;; [unrolled: 1-line block ×3, first 2 shown]
	v_fmac_f32_e32 v12, 0x3d64c772, v11
	v_fma_f32 v11, v20, s4, -v13
	v_fmac_f32_e32 v13, 0x3d64c772, v14
	v_fma_f32 v14, v15, s3, -v22
	;; [unrolled: 2-line block ×3, first 2 shown]
	v_fma_f32 v20, v17, s2, -v24
	v_mov_b32_e32 v5, v3
	v_mov_b32_e32 v17, v4
	v_fmac_f32_e32 v5, 0xbf955555, v8
	v_fmac_f32_e32 v17, 0xbf955555, v10
	v_add_f32_e32 v24, v12, v5
	v_add_f32_e32 v26, v11, v17
	v_mad_u64_u32 v[11:12], s[0:1], s20, v59, 0
	v_fma_f32 v21, v6, s2, -v25
	v_add_f32_e32 v25, v13, v17
	v_add_f32_e32 v13, v9, v5
	;; [unrolled: 1-line block ×3, first 2 shown]
	v_fmac_f32_e32 v22, 0xbee1c552, v7
	v_fmac_f32_e32 v15, 0xbee1c552, v16
	;; [unrolled: 1-line block ×4, first 2 shown]
	v_add_f32_e32 v18, v18, v17
	v_fmac_f32_e32 v14, 0xbee1c552, v7
	v_fmac_f32_e32 v20, 0xbee1c552, v7
	v_sub_f32_e32 v6, v25, v22
	v_add_f32_e32 v7, v21, v19
	v_sub_f32_e32 v9, v13, v15
	v_add_f32_e32 v13, v15, v13
	;; [unrolled: 2-line block ×3, first 2 shown]
	v_add_u32_e32 v22, 0x1ed, v0
	v_fmac_f32_e32 v23, 0xbee1c552, v16
	v_sub_f32_e32 v8, v26, v20
	v_add_f32_e32 v10, v14, v18
	v_sub_f32_e32 v14, v18, v14
	v_mad_u64_u32 v[17:18], s[0:1], s21, v59, v[12:13]
	v_add_f32_e32 v16, v20, v26
	v_mad_u64_u32 v[20:21], s[0:1], s20, v22, 0
	v_sub_f32_e32 v18, v24, v23
	v_mov_b32_e32 v12, v17
	v_mov_b32_e32 v17, v21
	v_mad_u64_u32 v[21:22], s[0:1], s21, v22, v[17:18]
	v_add_u32_e32 v17, 0x2ec, v0
	v_add_f32_e32 v5, v23, v24
	v_lshlrev_b64 v[11:12], 3, v[11:12]
	v_mad_u64_u32 v[22:23], s[0:1], s20, v17, 0
	v_add_co_u32_e32 v11, vcc, v1, v11
	v_addc_co_u32_e32 v12, vcc, v2, v12, vcc
	global_store_dwordx2 v[11:12], v[3:4], off
	v_mov_b32_e32 v11, v23
	v_mad_u64_u32 v[11:12], s[0:1], s21, v17, v[11:12]
	v_lshlrev_b64 v[3:4], 3, v[20:21]
	v_add_co_u32_e32 v3, vcc, v1, v3
	v_addc_co_u32_e32 v4, vcc, v2, v4, vcc
	v_mov_b32_e32 v23, v11
	v_add_u32_e32 v11, 0x3eb, v0
	global_store_dwordx2 v[3:4], v[5:6], off
	v_mad_u64_u32 v[5:6], s[0:1], s20, v11, 0
	v_lshlrev_b64 v[3:4], 3, v[22:23]
	v_mad_u64_u32 v[11:12], s[0:1], s21, v11, v[6:7]
	v_add_u32_e32 v12, 0x4ea, v0
	v_mad_u64_u32 v[20:21], s[0:1], s20, v12, 0
	v_add_co_u32_e32 v3, vcc, v1, v3
	v_addc_co_u32_e32 v4, vcc, v2, v4, vcc
	v_mov_b32_e32 v6, v11
	global_store_dwordx2 v[3:4], v[7:8], off
	v_lshlrev_b64 v[3:4], 3, v[5:6]
	v_mov_b32_e32 v5, v21
	v_mad_u64_u32 v[5:6], s[0:1], s21, v12, v[5:6]
	v_add_u32_e32 v7, 0x5e9, v0
	v_add_co_u32_e32 v3, vcc, v1, v3
	v_mov_b32_e32 v21, v5
	v_mad_u64_u32 v[5:6], s[0:1], s20, v7, 0
	v_addc_co_u32_e32 v4, vcc, v2, v4, vcc
	global_store_dwordx2 v[3:4], v[9:10], off
	v_mad_u64_u32 v[6:7], s[0:1], s21, v7, v[6:7]
	v_add_u32_e32 v9, 0x6e8, v0
	v_mad_u64_u32 v[7:8], s[0:1], s20, v9, 0
	v_lshlrev_b64 v[3:4], 3, v[20:21]
	v_add_co_u32_e32 v3, vcc, v1, v3
	v_addc_co_u32_e32 v4, vcc, v2, v4, vcc
	v_mov_b32_e32 v0, v8
	global_store_dwordx2 v[3:4], v[13:14], off
	v_lshlrev_b64 v[3:4], 3, v[5:6]
	v_mad_u64_u32 v[5:6], s[0:1], s21, v9, v[0:1]
	v_add_co_u32_e32 v3, vcc, v1, v3
	v_addc_co_u32_e32 v4, vcc, v2, v4, vcc
	v_mov_b32_e32 v8, v5
	global_store_dwordx2 v[3:4], v[15:16], off
	v_lshlrev_b64 v[3:4], 3, v[7:8]
	v_add_co_u32_e32 v0, vcc, v1, v3
	v_addc_co_u32_e32 v1, vcc, v2, v4, vcc
	global_store_dwordx2 v[0:1], v[18:19], off
.LBB0_22:
	s_endpgm
	.section	.rodata,"a",@progbits
	.p2align	6, 0x0
	.amdhsa_kernel fft_rtc_back_len1785_factors_17_3_5_7_wgs_119_tpt_119_halfLds_sp_op_CI_CI_sbrr_dirReg
		.amdhsa_group_segment_fixed_size 0
		.amdhsa_private_segment_fixed_size 0
		.amdhsa_kernarg_size 104
		.amdhsa_user_sgpr_count 6
		.amdhsa_user_sgpr_private_segment_buffer 1
		.amdhsa_user_sgpr_dispatch_ptr 0
		.amdhsa_user_sgpr_queue_ptr 0
		.amdhsa_user_sgpr_kernarg_segment_ptr 1
		.amdhsa_user_sgpr_dispatch_id 0
		.amdhsa_user_sgpr_flat_scratch_init 0
		.amdhsa_user_sgpr_private_segment_size 0
		.amdhsa_uses_dynamic_stack 0
		.amdhsa_system_sgpr_private_segment_wavefront_offset 0
		.amdhsa_system_sgpr_workgroup_id_x 1
		.amdhsa_system_sgpr_workgroup_id_y 0
		.amdhsa_system_sgpr_workgroup_id_z 0
		.amdhsa_system_sgpr_workgroup_info 0
		.amdhsa_system_vgpr_workitem_id 0
		.amdhsa_next_free_vgpr 96
		.amdhsa_next_free_sgpr 32
		.amdhsa_reserve_vcc 1
		.amdhsa_reserve_flat_scratch 0
		.amdhsa_float_round_mode_32 0
		.amdhsa_float_round_mode_16_64 0
		.amdhsa_float_denorm_mode_32 3
		.amdhsa_float_denorm_mode_16_64 3
		.amdhsa_dx10_clamp 1
		.amdhsa_ieee_mode 1
		.amdhsa_fp16_overflow 0
		.amdhsa_exception_fp_ieee_invalid_op 0
		.amdhsa_exception_fp_denorm_src 0
		.amdhsa_exception_fp_ieee_div_zero 0
		.amdhsa_exception_fp_ieee_overflow 0
		.amdhsa_exception_fp_ieee_underflow 0
		.amdhsa_exception_fp_ieee_inexact 0
		.amdhsa_exception_int_div_zero 0
	.end_amdhsa_kernel
	.text
.Lfunc_end0:
	.size	fft_rtc_back_len1785_factors_17_3_5_7_wgs_119_tpt_119_halfLds_sp_op_CI_CI_sbrr_dirReg, .Lfunc_end0-fft_rtc_back_len1785_factors_17_3_5_7_wgs_119_tpt_119_halfLds_sp_op_CI_CI_sbrr_dirReg
                                        ; -- End function
	.section	.AMDGPU.csdata,"",@progbits
; Kernel info:
; codeLenInByte = 13968
; NumSgprs: 36
; NumVgprs: 96
; ScratchSize: 0
; MemoryBound: 0
; FloatMode: 240
; IeeeMode: 1
; LDSByteSize: 0 bytes/workgroup (compile time only)
; SGPRBlocks: 4
; VGPRBlocks: 23
; NumSGPRsForWavesPerEU: 36
; NumVGPRsForWavesPerEU: 96
; Occupancy: 2
; WaveLimiterHint : 1
; COMPUTE_PGM_RSRC2:SCRATCH_EN: 0
; COMPUTE_PGM_RSRC2:USER_SGPR: 6
; COMPUTE_PGM_RSRC2:TRAP_HANDLER: 0
; COMPUTE_PGM_RSRC2:TGID_X_EN: 1
; COMPUTE_PGM_RSRC2:TGID_Y_EN: 0
; COMPUTE_PGM_RSRC2:TGID_Z_EN: 0
; COMPUTE_PGM_RSRC2:TIDIG_COMP_CNT: 0
	.type	__hip_cuid_d7cb9cd4c20a9036,@object ; @__hip_cuid_d7cb9cd4c20a9036
	.section	.bss,"aw",@nobits
	.globl	__hip_cuid_d7cb9cd4c20a9036
__hip_cuid_d7cb9cd4c20a9036:
	.byte	0                               ; 0x0
	.size	__hip_cuid_d7cb9cd4c20a9036, 1

	.ident	"AMD clang version 19.0.0git (https://github.com/RadeonOpenCompute/llvm-project roc-6.4.0 25133 c7fe45cf4b819c5991fe208aaa96edf142730f1d)"
	.section	".note.GNU-stack","",@progbits
	.addrsig
	.addrsig_sym __hip_cuid_d7cb9cd4c20a9036
	.amdgpu_metadata
---
amdhsa.kernels:
  - .args:
      - .actual_access:  read_only
        .address_space:  global
        .offset:         0
        .size:           8
        .value_kind:     global_buffer
      - .offset:         8
        .size:           8
        .value_kind:     by_value
      - .actual_access:  read_only
        .address_space:  global
        .offset:         16
        .size:           8
        .value_kind:     global_buffer
      - .actual_access:  read_only
        .address_space:  global
        .offset:         24
        .size:           8
        .value_kind:     global_buffer
      - .actual_access:  read_only
        .address_space:  global
        .offset:         32
        .size:           8
        .value_kind:     global_buffer
      - .offset:         40
        .size:           8
        .value_kind:     by_value
      - .actual_access:  read_only
        .address_space:  global
        .offset:         48
        .size:           8
        .value_kind:     global_buffer
      - .actual_access:  read_only
        .address_space:  global
        .offset:         56
        .size:           8
        .value_kind:     global_buffer
      - .offset:         64
        .size:           4
        .value_kind:     by_value
      - .actual_access:  read_only
        .address_space:  global
        .offset:         72
        .size:           8
        .value_kind:     global_buffer
      - .actual_access:  read_only
        .address_space:  global
        .offset:         80
        .size:           8
        .value_kind:     global_buffer
      - .actual_access:  read_only
        .address_space:  global
        .offset:         88
        .size:           8
        .value_kind:     global_buffer
      - .actual_access:  write_only
        .address_space:  global
        .offset:         96
        .size:           8
        .value_kind:     global_buffer
    .group_segment_fixed_size: 0
    .kernarg_segment_align: 8
    .kernarg_segment_size: 104
    .language:       OpenCL C
    .language_version:
      - 2
      - 0
    .max_flat_workgroup_size: 119
    .name:           fft_rtc_back_len1785_factors_17_3_5_7_wgs_119_tpt_119_halfLds_sp_op_CI_CI_sbrr_dirReg
    .private_segment_fixed_size: 0
    .sgpr_count:     36
    .sgpr_spill_count: 0
    .symbol:         fft_rtc_back_len1785_factors_17_3_5_7_wgs_119_tpt_119_halfLds_sp_op_CI_CI_sbrr_dirReg.kd
    .uniform_work_group_size: 1
    .uses_dynamic_stack: false
    .vgpr_count:     96
    .vgpr_spill_count: 0
    .wavefront_size: 64
amdhsa.target:   amdgcn-amd-amdhsa--gfx906
amdhsa.version:
  - 1
  - 2
...

	.end_amdgpu_metadata
